;; amdgpu-corpus repo=ROCm/rocFFT kind=compiled arch=gfx1030 opt=O3
	.text
	.amdgcn_target "amdgcn-amd-amdhsa--gfx1030"
	.amdhsa_code_object_version 6
	.protected	fft_rtc_fwd_len3375_factors_5_5_5_3_3_3_wgs_225_tpt_225_halfLds_sp_ip_CI_unitstride_sbrr_dirReg ; -- Begin function fft_rtc_fwd_len3375_factors_5_5_5_3_3_3_wgs_225_tpt_225_halfLds_sp_ip_CI_unitstride_sbrr_dirReg
	.globl	fft_rtc_fwd_len3375_factors_5_5_5_3_3_3_wgs_225_tpt_225_halfLds_sp_ip_CI_unitstride_sbrr_dirReg
	.p2align	8
	.type	fft_rtc_fwd_len3375_factors_5_5_5_3_3_3_wgs_225_tpt_225_halfLds_sp_ip_CI_unitstride_sbrr_dirReg,@function
fft_rtc_fwd_len3375_factors_5_5_5_3_3_3_wgs_225_tpt_225_halfLds_sp_ip_CI_unitstride_sbrr_dirReg: ; @fft_rtc_fwd_len3375_factors_5_5_5_3_3_3_wgs_225_tpt_225_halfLds_sp_ip_CI_unitstride_sbrr_dirReg
; %bb.0:
	s_clause 0x2
	s_load_dwordx4 s[8:11], s[4:5], 0x0
	s_load_dwordx2 s[2:3], s[4:5], 0x50
	s_load_dwordx2 s[12:13], s[4:5], 0x18
	v_mul_u32_u24_e32 v1, 0x124, v0
	v_mov_b32_e32 v3, 0
	v_add_nc_u32_sdwa v5, s6, v1 dst_sel:DWORD dst_unused:UNUSED_PAD src0_sel:DWORD src1_sel:WORD_1
	v_mov_b32_e32 v1, 0
	v_mov_b32_e32 v6, v3
	v_mov_b32_e32 v2, 0
	s_waitcnt lgkmcnt(0)
	v_cmp_lt_u64_e64 s0, s[10:11], 2
	s_and_b32 vcc_lo, exec_lo, s0
	s_cbranch_vccnz .LBB0_8
; %bb.1:
	s_load_dwordx2 s[0:1], s[4:5], 0x10
	v_mov_b32_e32 v1, 0
	s_add_u32 s6, s12, 8
	v_mov_b32_e32 v2, 0
	s_addc_u32 s7, s13, 0
	s_mov_b64 s[16:17], 1
	s_waitcnt lgkmcnt(0)
	s_add_u32 s14, s0, 8
	s_addc_u32 s15, s1, 0
.LBB0_2:                                ; =>This Inner Loop Header: Depth=1
	s_load_dwordx2 s[18:19], s[14:15], 0x0
                                        ; implicit-def: $vgpr7_vgpr8
	s_mov_b32 s0, exec_lo
	s_waitcnt lgkmcnt(0)
	v_or_b32_e32 v4, s19, v6
	v_cmpx_ne_u64_e32 0, v[3:4]
	s_xor_b32 s1, exec_lo, s0
	s_cbranch_execz .LBB0_4
; %bb.3:                                ;   in Loop: Header=BB0_2 Depth=1
	v_cvt_f32_u32_e32 v4, s18
	v_cvt_f32_u32_e32 v7, s19
	s_sub_u32 s0, 0, s18
	s_subb_u32 s20, 0, s19
	v_fmac_f32_e32 v4, 0x4f800000, v7
	v_rcp_f32_e32 v4, v4
	v_mul_f32_e32 v4, 0x5f7ffffc, v4
	v_mul_f32_e32 v7, 0x2f800000, v4
	v_trunc_f32_e32 v7, v7
	v_fmac_f32_e32 v4, 0xcf800000, v7
	v_cvt_u32_f32_e32 v7, v7
	v_cvt_u32_f32_e32 v4, v4
	v_mul_lo_u32 v8, s0, v7
	v_mul_hi_u32 v9, s0, v4
	v_mul_lo_u32 v10, s20, v4
	v_add_nc_u32_e32 v8, v9, v8
	v_mul_lo_u32 v9, s0, v4
	v_add_nc_u32_e32 v8, v8, v10
	v_mul_hi_u32 v10, v4, v9
	v_mul_lo_u32 v11, v4, v8
	v_mul_hi_u32 v12, v4, v8
	v_mul_hi_u32 v13, v7, v9
	v_mul_lo_u32 v9, v7, v9
	v_mul_hi_u32 v14, v7, v8
	v_mul_lo_u32 v8, v7, v8
	v_add_co_u32 v10, vcc_lo, v10, v11
	v_add_co_ci_u32_e32 v11, vcc_lo, 0, v12, vcc_lo
	v_add_co_u32 v9, vcc_lo, v10, v9
	v_add_co_ci_u32_e32 v9, vcc_lo, v11, v13, vcc_lo
	v_add_co_ci_u32_e32 v10, vcc_lo, 0, v14, vcc_lo
	v_add_co_u32 v8, vcc_lo, v9, v8
	v_add_co_ci_u32_e32 v9, vcc_lo, 0, v10, vcc_lo
	v_add_co_u32 v4, vcc_lo, v4, v8
	v_add_co_ci_u32_e32 v7, vcc_lo, v7, v9, vcc_lo
	v_mul_hi_u32 v8, s0, v4
	v_mul_lo_u32 v10, s20, v4
	v_mul_lo_u32 v9, s0, v7
	v_add_nc_u32_e32 v8, v8, v9
	v_mul_lo_u32 v9, s0, v4
	v_add_nc_u32_e32 v8, v8, v10
	v_mul_hi_u32 v10, v4, v9
	v_mul_lo_u32 v11, v4, v8
	v_mul_hi_u32 v12, v4, v8
	v_mul_hi_u32 v13, v7, v9
	v_mul_lo_u32 v9, v7, v9
	v_mul_hi_u32 v14, v7, v8
	v_mul_lo_u32 v8, v7, v8
	v_add_co_u32 v10, vcc_lo, v10, v11
	v_add_co_ci_u32_e32 v11, vcc_lo, 0, v12, vcc_lo
	v_add_co_u32 v9, vcc_lo, v10, v9
	v_add_co_ci_u32_e32 v9, vcc_lo, v11, v13, vcc_lo
	v_add_co_ci_u32_e32 v10, vcc_lo, 0, v14, vcc_lo
	v_add_co_u32 v8, vcc_lo, v9, v8
	v_add_co_ci_u32_e32 v9, vcc_lo, 0, v10, vcc_lo
	v_add_co_u32 v4, vcc_lo, v4, v8
	v_add_co_ci_u32_e32 v11, vcc_lo, v7, v9, vcc_lo
	v_mul_hi_u32 v13, v5, v4
	v_mad_u64_u32 v[9:10], null, v6, v4, 0
	v_mad_u64_u32 v[7:8], null, v5, v11, 0
	;; [unrolled: 1-line block ×3, first 2 shown]
	v_add_co_u32 v4, vcc_lo, v13, v7
	v_add_co_ci_u32_e32 v7, vcc_lo, 0, v8, vcc_lo
	v_add_co_u32 v4, vcc_lo, v4, v9
	v_add_co_ci_u32_e32 v4, vcc_lo, v7, v10, vcc_lo
	v_add_co_ci_u32_e32 v7, vcc_lo, 0, v12, vcc_lo
	v_add_co_u32 v4, vcc_lo, v4, v11
	v_add_co_ci_u32_e32 v9, vcc_lo, 0, v7, vcc_lo
	v_mul_lo_u32 v10, s19, v4
	v_mad_u64_u32 v[7:8], null, s18, v4, 0
	v_mul_lo_u32 v11, s18, v9
	v_sub_co_u32 v7, vcc_lo, v5, v7
	v_add3_u32 v8, v8, v11, v10
	v_sub_nc_u32_e32 v10, v6, v8
	v_subrev_co_ci_u32_e64 v10, s0, s19, v10, vcc_lo
	v_add_co_u32 v11, s0, v4, 2
	v_add_co_ci_u32_e64 v12, s0, 0, v9, s0
	v_sub_co_u32 v13, s0, v7, s18
	v_sub_co_ci_u32_e32 v8, vcc_lo, v6, v8, vcc_lo
	v_subrev_co_ci_u32_e64 v10, s0, 0, v10, s0
	v_cmp_le_u32_e32 vcc_lo, s18, v13
	v_cmp_eq_u32_e64 s0, s19, v8
	v_cndmask_b32_e64 v13, 0, -1, vcc_lo
	v_cmp_le_u32_e32 vcc_lo, s19, v10
	v_cndmask_b32_e64 v14, 0, -1, vcc_lo
	v_cmp_le_u32_e32 vcc_lo, s18, v7
	;; [unrolled: 2-line block ×3, first 2 shown]
	v_cndmask_b32_e64 v15, 0, -1, vcc_lo
	v_cmp_eq_u32_e32 vcc_lo, s19, v10
	v_cndmask_b32_e64 v7, v15, v7, s0
	v_cndmask_b32_e32 v10, v14, v13, vcc_lo
	v_add_co_u32 v13, vcc_lo, v4, 1
	v_add_co_ci_u32_e32 v14, vcc_lo, 0, v9, vcc_lo
	v_cmp_ne_u32_e32 vcc_lo, 0, v10
	v_cndmask_b32_e32 v8, v14, v12, vcc_lo
	v_cndmask_b32_e32 v10, v13, v11, vcc_lo
	v_cmp_ne_u32_e32 vcc_lo, 0, v7
	v_cndmask_b32_e32 v8, v9, v8, vcc_lo
	v_cndmask_b32_e32 v7, v4, v10, vcc_lo
.LBB0_4:                                ;   in Loop: Header=BB0_2 Depth=1
	s_andn2_saveexec_b32 s0, s1
	s_cbranch_execz .LBB0_6
; %bb.5:                                ;   in Loop: Header=BB0_2 Depth=1
	v_cvt_f32_u32_e32 v4, s18
	s_sub_i32 s1, 0, s18
	v_rcp_iflag_f32_e32 v4, v4
	v_mul_f32_e32 v4, 0x4f7ffffe, v4
	v_cvt_u32_f32_e32 v4, v4
	v_mul_lo_u32 v7, s1, v4
	v_mul_hi_u32 v7, v4, v7
	v_add_nc_u32_e32 v4, v4, v7
	v_mul_hi_u32 v4, v5, v4
	v_mul_lo_u32 v7, v4, s18
	v_add_nc_u32_e32 v8, 1, v4
	v_sub_nc_u32_e32 v7, v5, v7
	v_subrev_nc_u32_e32 v9, s18, v7
	v_cmp_le_u32_e32 vcc_lo, s18, v7
	v_cndmask_b32_e32 v7, v7, v9, vcc_lo
	v_cndmask_b32_e32 v4, v4, v8, vcc_lo
	v_cmp_le_u32_e32 vcc_lo, s18, v7
	v_add_nc_u32_e32 v8, 1, v4
	v_cndmask_b32_e32 v7, v4, v8, vcc_lo
	v_mov_b32_e32 v8, v3
.LBB0_6:                                ;   in Loop: Header=BB0_2 Depth=1
	s_or_b32 exec_lo, exec_lo, s0
	s_load_dwordx2 s[0:1], s[6:7], 0x0
	v_mul_lo_u32 v4, v8, s18
	v_mul_lo_u32 v11, v7, s19
	v_mad_u64_u32 v[9:10], null, v7, s18, 0
	s_add_u32 s16, s16, 1
	s_addc_u32 s17, s17, 0
	s_add_u32 s6, s6, 8
	s_addc_u32 s7, s7, 0
	;; [unrolled: 2-line block ×3, first 2 shown]
	v_add3_u32 v4, v10, v11, v4
	v_sub_co_u32 v5, vcc_lo, v5, v9
	v_sub_co_ci_u32_e32 v4, vcc_lo, v6, v4, vcc_lo
	s_waitcnt lgkmcnt(0)
	v_mul_lo_u32 v6, s1, v5
	v_mul_lo_u32 v4, s0, v4
	v_mad_u64_u32 v[1:2], null, s0, v5, v[1:2]
	v_cmp_ge_u64_e64 s0, s[16:17], s[10:11]
	s_and_b32 vcc_lo, exec_lo, s0
	v_add3_u32 v2, v6, v2, v4
	s_cbranch_vccnz .LBB0_9
; %bb.7:                                ;   in Loop: Header=BB0_2 Depth=1
	v_mov_b32_e32 v5, v7
	v_mov_b32_e32 v6, v8
	s_branch .LBB0_2
.LBB0_8:
	v_mov_b32_e32 v8, v6
	v_mov_b32_e32 v7, v5
.LBB0_9:
	s_lshl_b64 s[0:1], s[10:11], 3
	v_mul_hi_u32 v5, 0x1234568, v0
	s_add_u32 s0, s12, s0
	s_addc_u32 s1, s13, s1
                                        ; implicit-def: $vgpr16
                                        ; implicit-def: $vgpr14
                                        ; implicit-def: $vgpr18
                                        ; implicit-def: $vgpr10
                                        ; implicit-def: $vgpr20
                                        ; implicit-def: $vgpr22
                                        ; implicit-def: $vgpr24
                                        ; implicit-def: $vgpr26
                                        ; implicit-def: $vgpr12
                                        ; implicit-def: $vgpr32
                                        ; implicit-def: $vgpr34
                                        ; implicit-def: $vgpr28
                                        ; implicit-def: $vgpr30
	s_load_dwordx2 s[0:1], s[0:1], 0x0
	s_load_dwordx2 s[4:5], s[4:5], 0x20
	s_waitcnt lgkmcnt(0)
	v_mul_lo_u32 v3, s0, v8
	v_mul_lo_u32 v4, s1, v7
	v_mad_u64_u32 v[1:2], null, s0, v7, v[1:2]
	v_cmp_gt_u64_e32 vcc_lo, s[4:5], v[7:8]
                                        ; implicit-def: $vgpr8
	v_add3_u32 v2, v4, v2, v3
	v_mul_u32_u24_e32 v3, 0xe1, v5
                                        ; implicit-def: $vgpr5
	v_lshlrev_b64 v[1:2], 3, v[1:2]
	v_sub_nc_u32_e32 v3, v0, v3
	s_and_saveexec_b32 s1, vcc_lo
	s_cbranch_execz .LBB0_11
; %bb.10:
	v_mov_b32_e32 v4, 0
	v_add_co_u32 v0, s0, s2, v1
	v_add_co_ci_u32_e64 v6, s0, s3, v2, s0
	v_lshlrev_b64 v[4:5], 3, v[3:4]
	v_add_co_u32 v4, s0, v0, v4
	v_add_co_ci_u32_e64 v5, s0, v6, v5, s0
	v_add_co_u32 v9, s0, 0x2800, v4
	v_add_co_ci_u32_e64 v10, s0, 0, v5, s0
	v_add_co_u32 v11, s0, 0x1000, v4
	v_add_co_ci_u32_e64 v12, s0, 0, v5, s0
	v_add_co_u32 v13, s0, 0x3800, v4
	v_add_co_ci_u32_e64 v14, s0, 0, v5, s0
	s_clause 0x1
	global_load_dwordx2 v[7:8], v[4:5], off
	global_load_dwordx2 v[27:28], v[9:10], off offset:560
	v_add_co_u32 v9, s0, 0x5000, v4
	v_add_co_ci_u32_e64 v10, s0, 0, v5, s0
	v_add_co_u32 v15, s0, 0x1800, v4
	v_add_co_ci_u32_e64 v16, s0, 0, v5, s0
	;; [unrolled: 2-line block ×6, first 2 shown]
	s_clause 0x7
	global_load_dwordx2 v[29:30], v[11:12], off offset:1304
	global_load_dwordx2 v[11:12], v[4:5], off offset:1800
	;; [unrolled: 1-line block ×8, first 2 shown]
	v_add_co_u32 v15, s0, 0x2000, v4
	v_add_co_ci_u32_e64 v16, s0, 0, v5, s0
	v_add_co_u32 v35, s0, 0x4800, v4
	v_add_co_ci_u32_e64 v36, s0, 0, v5, s0
	;; [unrolled: 2-line block ×3, first 2 shown]
	s_clause 0x4
	global_load_dwordx2 v[33:34], v[13:14], off offset:1864
	global_load_dwordx2 v[13:14], v[13:14], off offset:64
	;; [unrolled: 1-line block ×5, first 2 shown]
.LBB0_11:
	s_or_b32 exec_lo, exec_lo, s1
	s_waitcnt vmcnt(4)
	v_add_f32_e32 v0, v33, v27
	v_add_f32_e32 v6, v29, v7
	v_sub_f32_e32 v35, v30, v32
	v_add_f32_e32 v39, v31, v29
	v_sub_f32_e32 v36, v28, v34
	v_fma_f32 v0, -0.5, v0, v7
	v_add_f32_e32 v6, v27, v6
	v_add_f32_e32 v42, v30, v8
	v_fmac_f32_e32 v7, -0.5, v39
	v_sub_f32_e32 v37, v29, v27
	v_fmamk_f32 v41, v35, 0x3f737871, v0
	v_fmac_f32_e32 v0, 0xbf737871, v35
	v_sub_f32_e32 v38, v31, v33
	v_add_f32_e32 v6, v33, v6
	v_fmamk_f32 v39, v36, 0xbf737871, v7
	v_fmac_f32_e32 v41, 0x3f167918, v36
	v_fmac_f32_e32 v0, 0xbf167918, v36
	v_add_f32_e32 v43, v34, v28
	v_fmac_f32_e32 v7, 0x3f737871, v36
	v_add_f32_e32 v36, v28, v42
	v_sub_f32_e32 v40, v27, v29
	v_add_f32_e32 v37, v38, v37
	v_sub_f32_e32 v38, v33, v31
	v_add_f32_e32 v6, v31, v6
	v_fma_f32 v49, -0.5, v43, v8
	v_sub_f32_e32 v29, v29, v31
	v_add_f32_e32 v31, v34, v36
	v_add_f32_e32 v36, v32, v30
	v_fmac_f32_e32 v41, 0x3e9e377a, v37
	v_fmac_f32_e32 v39, 0x3f167918, v35
	;; [unrolled: 1-line block ×4, first 2 shown]
	v_fmamk_f32 v35, v29, 0xbf737871, v49
	v_sub_f32_e32 v27, v27, v33
	v_sub_f32_e32 v33, v30, v28
	;; [unrolled: 1-line block ×3, first 2 shown]
	v_fmac_f32_e32 v8, -0.5, v36
	v_add_f32_e32 v31, v32, v31
	v_fmac_f32_e32 v49, 0x3f737871, v29
	v_sub_f32_e32 v28, v28, v30
	v_sub_f32_e32 v30, v34, v32
	v_add_f32_e32 v32, v21, v23
	v_add_f32_e32 v38, v38, v40
	v_fmac_f32_e32 v35, 0xbf167918, v27
	v_add_f32_e32 v33, v37, v33
	v_fmamk_f32 v36, v27, 0x3f737871, v8
	v_fmac_f32_e32 v49, 0x3f167918, v27
	v_add_f32_e32 v28, v30, v28
	v_add_f32_e32 v30, v25, v11
	v_fma_f32 v32, -0.5, v32, v11
	v_sub_f32_e32 v34, v26, v20
	v_fmac_f32_e32 v8, 0xbf737871, v27
	v_add_f32_e32 v40, v19, v25
	v_fmac_f32_e32 v39, 0x3e9e377a, v38
	v_fmac_f32_e32 v7, 0x3e9e377a, v38
	;; [unrolled: 1-line block ×5, first 2 shown]
	v_add_f32_e32 v27, v23, v30
	v_fmamk_f32 v30, v34, 0x3f737871, v32
	v_sub_f32_e32 v33, v24, v22
	v_sub_f32_e32 v37, v25, v23
	;; [unrolled: 1-line block ×3, first 2 shown]
	v_fmac_f32_e32 v8, 0x3f167918, v29
	v_fmac_f32_e32 v11, -0.5, v40
	v_fmac_f32_e32 v32, 0xbf737871, v34
	v_add_f32_e32 v40, v26, v12
	v_fmac_f32_e32 v36, 0x3e9e377a, v28
	v_add_f32_e32 v27, v21, v27
	;; [unrolled: 2-line block ×3, first 2 shown]
	v_fmac_f32_e32 v8, 0x3e9e377a, v28
	v_fmamk_f32 v28, v33, 0xbf737871, v11
	v_sub_f32_e32 v37, v23, v25
	v_sub_f32_e32 v38, v21, v19
	v_fmac_f32_e32 v32, 0xbf167918, v33
	v_add_f32_e32 v42, v22, v24
	v_fmac_f32_e32 v11, 0x3f737871, v33
	v_add_f32_e32 v33, v24, v40
	v_add_f32_e32 v27, v19, v27
	;; [unrolled: 1-line block ×3, first 2 shown]
	v_fma_f32 v38, -0.5, v42, v12
	v_sub_f32_e32 v19, v25, v19
	v_add_f32_e32 v25, v22, v33
	v_add_f32_e32 v33, v20, v26
	v_fmac_f32_e32 v30, 0x3e9e377a, v29
	v_fmac_f32_e32 v28, 0x3f167918, v34
	;; [unrolled: 1-line block ×4, first 2 shown]
	v_fmamk_f32 v29, v19, 0xbf737871, v38
	v_sub_f32_e32 v21, v23, v21
	v_sub_f32_e32 v23, v26, v24
	;; [unrolled: 1-line block ×3, first 2 shown]
	v_fmac_f32_e32 v12, -0.5, v33
	v_add_f32_e32 v25, v20, v25
	v_fmac_f32_e32 v38, 0x3f737871, v19
	v_sub_f32_e32 v24, v24, v26
	v_sub_f32_e32 v20, v22, v20
	s_waitcnt vmcnt(1)
	v_add_f32_e32 v22, v4, v13
	v_fmac_f32_e32 v29, 0xbf167918, v21
	v_add_f32_e32 v23, v34, v23
	v_fmamk_f32 v33, v21, 0x3f737871, v12
	v_fmac_f32_e32 v38, 0x3f167918, v21
	v_add_f32_e32 v20, v20, v24
	v_fmac_f32_e32 v12, 0xbf737871, v21
	v_add_f32_e32 v21, v17, v9
	v_fma_f32 v22, -0.5, v22, v9
	s_waitcnt vmcnt(0)
	v_sub_f32_e32 v24, v18, v16
	v_fmac_f32_e32 v28, 0x3e9e377a, v37
	v_fmac_f32_e32 v11, 0x3e9e377a, v37
	v_fmac_f32_e32 v29, 0x3e9e377a, v23
	v_fmac_f32_e32 v33, 0xbf167918, v19
	v_fmac_f32_e32 v38, 0x3e9e377a, v23
	v_fmac_f32_e32 v12, 0x3f167918, v19
	v_add_f32_e32 v19, v13, v21
	v_fmamk_f32 v23, v24, 0x3f737871, v22
	v_sub_f32_e32 v21, v14, v5
	v_sub_f32_e32 v26, v17, v13
	;; [unrolled: 1-line block ×3, first 2 shown]
	v_fmac_f32_e32 v22, 0xbf737871, v24
	v_add_f32_e32 v37, v15, v17
	v_fmac_f32_e32 v23, 0x3f167918, v21
	v_fmac_f32_e32 v33, 0x3e9e377a, v20
	v_add_f32_e32 v26, v34, v26
	v_fmac_f32_e32 v22, 0xbf167918, v21
	v_fmac_f32_e32 v9, -0.5, v37
	v_add_f32_e32 v19, v4, v19
	v_fmac_f32_e32 v12, 0x3e9e377a, v20
	v_fmac_f32_e32 v23, 0x3e9e377a, v26
	;; [unrolled: 1-line block ×3, first 2 shown]
	v_fmamk_f32 v20, v21, 0xbf737871, v9
	v_add_f32_e32 v26, v18, v10
	v_add_f32_e32 v34, v5, v14
	v_sub_f32_e32 v37, v13, v17
	v_sub_f32_e32 v40, v4, v15
	v_fmac_f32_e32 v9, 0x3f737871, v21
	v_mad_u32_u24 v50, v3, 20, 0
	v_add_f32_e32 v19, v15, v19
	v_add_f32_e32 v21, v14, v26
	v_fma_f32 v26, -0.5, v34, v10
	v_sub_f32_e32 v15, v17, v15
	v_fmac_f32_e32 v20, 0x3f167918, v24
	v_add_f32_e32 v17, v40, v37
	v_fmac_f32_e32 v9, 0xbf167918, v24
	v_add_f32_e32 v34, v16, v18
	v_add_nc_u32_e32 v51, 0x1194, v50
	v_fmamk_f32 v24, v15, 0xbf737871, v26
	v_sub_f32_e32 v4, v13, v4
	v_fmac_f32_e32 v20, 0x3e9e377a, v17
	v_fmac_f32_e32 v9, 0x3e9e377a, v17
	v_fmac_f32_e32 v10, -0.5, v34
	v_sub_f32_e32 v13, v18, v14
	v_sub_f32_e32 v17, v16, v5
	v_fmac_f32_e32 v26, 0x3f737871, v15
	v_sub_f32_e32 v14, v14, v18
	ds_write2_b32 v50, v6, v41 offset1:1
	ds_write2_b32 v50, v39, v7 offset0:2 offset1:3
	ds_write_b32 v50, v0 offset:16
	v_add_nc_u32_e32 v52, 0x119c, v50
	ds_write2_b32 v51, v27, v30 offset1:1
	v_lshlrev_b32_e32 v0, 4, v3
	v_add_nc_u32_e32 v27, 0x2328, v50
	v_and_b32_e32 v18, 0xff, v3
	v_add_nc_u32_e32 v30, 0x2330, v50
	v_add_f32_e32 v21, v5, v21
	v_fmac_f32_e32 v24, 0xbf167918, v4
	v_fmamk_f32 v34, v4, 0x3f737871, v10
	v_sub_f32_e32 v5, v5, v16
	v_fmac_f32_e32 v10, 0xbf737871, v4
	v_add_f32_e32 v13, v17, v13
	v_fmac_f32_e32 v26, 0x3f167918, v4
	ds_write2_b32 v52, v28, v11 offset1:1
	ds_write_b32 v50, v32 offset:4516
	v_sub_nc_u32_e32 v0, v50, v0
	ds_write2_b32 v27, v19, v23 offset1:1
	ds_write2_b32 v30, v20, v9 offset1:1
	ds_write_b32 v50, v22 offset:9016
	v_mul_lo_u16 v9, 0xcd, v18
	v_fmac_f32_e32 v34, 0xbf167918, v15
	v_add_f32_e32 v4, v5, v14
	v_fmac_f32_e32 v10, 0x3f167918, v15
	v_fmac_f32_e32 v24, 0x3e9e377a, v13
	;; [unrolled: 1-line block ×3, first 2 shown]
	v_add_nc_u32_e32 v13, 0x1c00, v0
	v_add_nc_u32_e32 v17, 0xe00, v0
	v_lshrrev_b16 v53, 10, v9
	v_add_f32_e32 v37, v16, v21
	v_add_nc_u32_e32 v20, 0x700, v0
	v_add_nc_u32_e32 v14, 0x2a00, v0
	;; [unrolled: 1-line block ×4, first 2 shown]
	v_fmac_f32_e32 v34, 0x3e9e377a, v4
	v_fmac_f32_e32 v10, 0x3e9e377a, v4
	s_waitcnt lgkmcnt(0)
	s_barrier
	buffer_gl0_inv
	ds_read2_b32 v[6:7], v0 offset1:225
	ds_read2_b32 v[4:5], v20 offset0:2 offset1:227
	ds_read2_b32 v[39:40], v15 offset0:6 offset1:231
	;; [unrolled: 1-line block ×6, first 2 shown]
	ds_read_b32 v19, v0 offset:12600
	s_waitcnt lgkmcnt(0)
	s_barrier
	buffer_gl0_inv
	ds_write2_b32 v50, v31, v35 offset1:1
	ds_write2_b32 v50, v36, v8 offset0:2 offset1:3
	v_mul_lo_u16 v8, v53, 5
	v_add_nc_u32_e32 v21, 0xe1, v3
	ds_write_b32 v50, v49 offset:16
	ds_write2_b32 v51, v25, v29 offset1:1
	ds_write2_b32 v52, v33, v12 offset1:1
	ds_write_b32 v50, v38 offset:4516
	v_mov_b32_e32 v12, 5
	ds_write2_b32 v27, v37, v24 offset1:1
	ds_write2_b32 v30, v34, v10 offset1:1
	ds_write_b32 v50, v26 offset:9016
	v_sub_nc_u16 v49, v3, v8
	v_mov_b32_e32 v8, 0xcccd
	s_waitcnt lgkmcnt(0)
	s_barrier
	buffer_gl0_inv
	v_lshlrev_b32_sdwa v35, v12, v49 dst_sel:DWORD dst_unused:UNUSED_PAD src0_sel:DWORD src1_sel:BYTE_0
	v_mul_u32_u24_sdwa v9, v21, v8 dst_sel:DWORD dst_unused:UNUSED_PAD src0_sel:WORD_0 src1_sel:DWORD
	v_add_nc_u32_e32 v22, 0x1c2, v3
	v_mul_lo_u16 v18, v18, 41
	v_cmp_gt_u32_e64 s0, 0x7d, v3
	global_load_dwordx4 v[23:26], v35, s[8:9]
	v_lshrrev_b32_e32 v50, 18, v9
	v_mul_u32_u24_sdwa v8, v22, v8 dst_sel:DWORD dst_unused:UNUSED_PAD src0_sel:WORD_0 src1_sel:DWORD
	v_mul_lo_u16 v9, v50, 5
	v_lshrrev_b32_e32 v54, 18, v8
	v_sub_nc_u16 v51, v21, v9
	v_mul_lo_u16 v8, v54, 5
	v_lshlrev_b32_sdwa v52, v12, v51 dst_sel:DWORD dst_unused:UNUSED_PAD src0_sel:DWORD src1_sel:WORD_0
	v_sub_nc_u16 v55, v22, v8
	global_load_dwordx4 v[27:30], v52, s[8:9]
	v_lshlrev_b32_sdwa v56, v12, v55 dst_sel:DWORD dst_unused:UNUSED_PAD src0_sel:DWORD src1_sel:WORD_0
	global_load_dwordx4 v[31:34], v56, s[8:9]
	ds_read2_b32 v[8:9], v20 offset0:2 offset1:227
	ds_read2_b32 v[10:11], v15 offset0:6 offset1:231
	global_load_dwordx4 v[35:38], v35, s[8:9] offset:16
	s_waitcnt vmcnt(3)
	v_mul_f32_e32 v58, v5, v24
	v_mul_f32_e32 v59, v39, v26
	s_waitcnt lgkmcnt(1)
	v_mul_f32_e32 v57, v9, v24
	s_waitcnt lgkmcnt(0)
	v_mul_f32_e32 v24, v10, v26
	v_fmac_f32_e32 v58, v9, v23
	v_fmac_f32_e32 v59, v10, v25
	ds_read2_b32 v[9:10], v17 offset0:4 offset1:229
	v_fma_f32 v5, v5, v23, -v57
	v_fma_f32 v57, v39, v25, -v24
	s_waitcnt vmcnt(2)
	v_mul_f32_e32 v23, v11, v30
	v_mul_f32_e32 v60, v40, v30
	;; [unrolled: 1-line block ×3, first 2 shown]
	v_fma_f32 v61, v40, v29, -v23
	global_load_dwordx4 v[23:26], v52, s[8:9] offset:16
	v_fmac_f32_e32 v60, v11, v29
	s_waitcnt lgkmcnt(0)
	v_mul_f32_e32 v11, v9, v28
	v_fmac_f32_e32 v62, v9, v27
	ds_read2_b32 v[39:40], v13 offset0:8 offset1:233
	s_waitcnt vmcnt(2)
	v_mul_f32_e32 v9, v10, v32
	v_fma_f32 v11, v45, v27, -v11
	global_load_dwordx4 v[27:30], v56, s[8:9] offset:16
	v_fma_f32 v45, v46, v31, -v9
	v_mul_f32_e32 v46, v46, v32
	v_fmac_f32_e32 v46, v10, v31
	s_waitcnt lgkmcnt(0)
	v_mul_f32_e32 v9, v39, v34
	v_mul_f32_e32 v34, v41, v34
	v_fma_f32 v41, v41, v33, -v9
	s_waitcnt vmcnt(2)
	v_mul_f32_e32 v9, v40, v36
	v_fmac_f32_e32 v34, v39, v33
	v_mul_f32_e32 v33, v42, v36
	v_fma_f32 v36, v42, v35, -v9
	ds_read2_b32 v[9:10], v14 offset0:12 offset1:237
	v_fmac_f32_e32 v33, v40, v35
	v_mul_f32_e32 v35, v43, v38
	v_sub_f32_e32 v40, v59, v58
	v_sub_f32_e32 v52, v59, v33
	v_add_f32_e32 v56, v59, v33
	s_waitcnt lgkmcnt(0)
	v_mul_f32_e32 v31, v9, v38
	v_fmac_f32_e32 v35, v9, v37
	v_fma_f32 v38, v43, v37, -v31
	ds_read2_b32 v[31:32], v16 offset0:10 offset1:235
	ds_read_b32 v9, v0 offset:12600
	v_sub_f32_e32 v42, v33, v35
	v_add_f32_e32 v43, v7, v11
	s_waitcnt vmcnt(1)
	v_mul_f32_e32 v37, v10, v26
	v_mul_f32_e32 v26, v44, v26
	s_waitcnt lgkmcnt(1)
	v_mul_f32_e32 v39, v31, v24
	v_fma_f32 v37, v44, v25, -v37
	v_fmac_f32_e32 v26, v10, v25
	v_mul_f32_e32 v10, v47, v24
	s_waitcnt vmcnt(0)
	v_mul_f32_e32 v24, v32, v28
	v_fma_f32 v25, v47, v23, -v39
	v_mul_f32_e32 v28, v48, v28
	v_sub_f32_e32 v39, v35, v33
	v_fmac_f32_e32 v10, v31, v23
	s_waitcnt lgkmcnt(0)
	v_mul_f32_e32 v23, v9, v30
	v_mul_f32_e32 v30, v19, v30
	v_fma_f32 v31, v48, v27, -v24
	v_sub_f32_e32 v24, v38, v36
	v_fmac_f32_e32 v28, v32, v27
	v_fma_f32 v19, v19, v29, -v23
	v_sub_f32_e32 v23, v5, v57
	v_fmac_f32_e32 v30, v9, v29
	v_sub_f32_e32 v27, v57, v5
	v_sub_f32_e32 v29, v36, v38
	;; [unrolled: 1-line block ×3, first 2 shown]
	v_add_f32_e32 v47, v23, v24
	v_sub_f32_e32 v23, v11, v61
	v_sub_f32_e32 v24, v37, v25
	v_add_f32_e32 v27, v27, v29
	v_add_f32_e32 v29, v32, v39
	v_add_f32_e32 v39, v40, v42
	v_sub_f32_e32 v40, v61, v11
	v_add_f32_e32 v42, v23, v24
	v_sub_f32_e32 v23, v25, v37
	v_add_f32_e32 v9, v6, v5
	v_add_f32_e32 v44, v61, v25
	;; [unrolled: 1-line block ×3, first 2 shown]
	v_sub_f32_e32 v48, v57, v36
	v_add_f32_e32 v40, v40, v23
	ds_read2_b32 v[23:24], v0 offset1:225
	v_add_f32_e32 v9, v9, v57
	v_fma_f32 v44, -0.5, v44, v7
	v_fmac_f32_e32 v7, -0.5, v32
	v_add_f32_e32 v32, v57, v36
	v_sub_f32_e32 v11, v11, v37
	v_add_f32_e32 v9, v9, v36
	s_waitcnt lgkmcnt(0)
	s_barrier
	v_fma_f32 v32, -0.5, v32, v6
	buffer_gl0_inv
	v_add_f32_e32 v9, v9, v38
	v_add_f32_e32 v36, v23, v58
	;; [unrolled: 1-line block ×5, first 2 shown]
	v_sub_f32_e32 v5, v5, v38
	v_add_f32_e32 v33, v33, v35
	v_fma_f32 v6, -0.5, v36, v6
	v_sub_f32_e32 v36, v58, v35
	v_fmamk_f32 v57, v52, 0xbf737871, v6
	v_fmac_f32_e32 v6, 0x3f737871, v52
	v_fmamk_f32 v38, v36, 0x3f737871, v32
	v_fmac_f32_e32 v32, 0xbf737871, v36
	v_fmac_f32_e32 v57, 0x3f167918, v36
	;; [unrolled: 1-line block ×3, first 2 shown]
	v_add_f32_e32 v36, v58, v35
	v_fma_f32 v35, -0.5, v56, v23
	v_fmac_f32_e32 v38, 0x3f167918, v52
	v_fmac_f32_e32 v32, 0xbf167918, v52
	;; [unrolled: 1-line block ×3, first 2 shown]
	v_fma_f32 v23, -0.5, v36, v23
	v_fmamk_f32 v36, v5, 0xbf737871, v35
	v_fmac_f32_e32 v35, 0x3f737871, v5
	v_fmac_f32_e32 v6, 0x3e9e377a, v27
	v_add_f32_e32 v27, v24, v62
	v_fmamk_f32 v52, v48, 0x3f737871, v23
	v_fmac_f32_e32 v23, 0xbf737871, v48
	v_fmac_f32_e32 v36, 0xbf167918, v48
	;; [unrolled: 1-line block ×3, first 2 shown]
	v_sub_f32_e32 v48, v60, v10
	v_fmac_f32_e32 v52, 0xbf167918, v5
	v_fmac_f32_e32 v23, 0x3f167918, v5
	v_add_f32_e32 v5, v43, v61
	v_fmac_f32_e32 v36, 0x3e9e377a, v29
	v_fmamk_f32 v56, v48, 0xbf737871, v7
	v_fmac_f32_e32 v7, 0x3f737871, v48
	v_fmac_f32_e32 v35, 0x3e9e377a, v29
	v_add_f32_e32 v5, v5, v25
	v_fmac_f32_e32 v52, 0x3e9e377a, v39
	v_fmac_f32_e32 v23, 0x3e9e377a, v39
	v_add_f32_e32 v29, v60, v10
	v_add_f32_e32 v39, v62, v26
	;; [unrolled: 1-line block ×3, first 2 shown]
	v_sub_f32_e32 v37, v62, v26
	v_add_f32_e32 v27, v27, v60
	v_fma_f32 v29, -0.5, v29, v24
	v_sub_f32_e32 v25, v61, v25
	v_fmac_f32_e32 v24, -0.5, v39
	v_fmamk_f32 v43, v37, 0x3f737871, v44
	v_fmac_f32_e32 v44, 0xbf737871, v37
	v_fmac_f32_e32 v56, 0x3f167918, v37
	;; [unrolled: 1-line block ×3, first 2 shown]
	v_add_f32_e32 v27, v27, v10
	v_fmac_f32_e32 v43, 0x3f167918, v48
	v_fmac_f32_e32 v44, 0xbf167918, v48
	;; [unrolled: 1-line block ×4, first 2 shown]
	v_sub_f32_e32 v40, v26, v10
	v_fmac_f32_e32 v43, 0x3e9e377a, v42
	v_fmac_f32_e32 v44, 0x3e9e377a, v42
	v_sub_f32_e32 v42, v60, v62
	v_fmamk_f32 v58, v25, 0x3f737871, v24
	v_sub_f32_e32 v10, v10, v26
	v_fmac_f32_e32 v24, 0xbf737871, v25
	v_fmamk_f32 v37, v11, 0xbf737871, v29
	v_sub_f32_e32 v39, v62, v60
	v_fmac_f32_e32 v29, 0x3f737871, v11
	v_fmac_f32_e32 v58, 0xbf167918, v11
	v_add_f32_e32 v10, v42, v10
	v_fmac_f32_e32 v24, 0x3f167918, v11
	v_add_f32_e32 v11, v41, v31
	v_add_f32_e32 v27, v27, v26
	v_fmac_f32_e32 v37, 0xbf167918, v25
	v_add_f32_e32 v26, v39, v40
	v_fmac_f32_e32 v29, 0x3f167918, v25
	v_fmac_f32_e32 v58, 0x3e9e377a, v10
	;; [unrolled: 1-line block ×3, first 2 shown]
	v_fma_f32 v10, -0.5, v11, v4
	v_sub_f32_e32 v11, v45, v41
	v_sub_f32_e32 v25, v19, v31
	v_add_f32_e32 v39, v45, v19
	v_sub_f32_e32 v40, v41, v45
	v_sub_f32_e32 v42, v31, v19
	v_fmac_f32_e32 v37, 0x3e9e377a, v26
	v_fmac_f32_e32 v29, 0x3e9e377a, v26
	v_sub_f32_e32 v26, v46, v30
	v_add_f32_e32 v25, v11, v25
	v_add_f32_e32 v11, v4, v45
	v_fmac_f32_e32 v4, -0.5, v39
	v_add_f32_e32 v40, v40, v42
	v_sub_f32_e32 v42, v34, v28
	v_fmac_f32_e32 v38, 0x3e9e377a, v47
	v_fmac_f32_e32 v32, 0x3e9e377a, v47
	v_fmamk_f32 v39, v26, 0x3f737871, v10
	v_fmac_f32_e32 v10, 0xbf737871, v26
	v_fmamk_f32 v47, v42, 0xbf737871, v4
	v_fmac_f32_e32 v4, 0x3f737871, v42
	v_add_f32_e32 v11, v11, v41
	v_fmac_f32_e32 v39, 0x3f167918, v42
	v_fmac_f32_e32 v10, 0xbf167918, v42
	;; [unrolled: 1-line block ×4, first 2 shown]
	v_add_f32_e32 v42, v11, v31
	v_fmac_f32_e32 v39, 0x3e9e377a, v25
	v_fmac_f32_e32 v10, 0x3e9e377a, v25
	;; [unrolled: 1-line block ×4, first 2 shown]
	v_add_f32_e32 v26, v42, v19
	v_sub_f32_e32 v40, v46, v34
	v_sub_f32_e32 v42, v30, v28
	v_add_f32_e32 v25, v8, v46
	v_mov_b32_e32 v11, 2
	v_sub_f32_e32 v31, v41, v31
	v_add_f32_e32 v41, v34, v28
	v_add_f32_e32 v40, v40, v42
	;; [unrolled: 1-line block ×4, first 2 shown]
	v_sub_f32_e32 v19, v45, v19
	v_lshlrev_b32_sdwa v45, v11, v49 dst_sel:DWORD dst_unused:UNUSED_PAD src0_sel:DWORD src1_sel:BYTE_0
	v_fma_f32 v49, -0.5, v41, v8
	v_fmac_f32_e32 v8, -0.5, v42
	v_add_f32_e32 v25, v25, v28
	v_lshlrev_b32_sdwa v48, v11, v55 dst_sel:DWORD dst_unused:UNUSED_PAD src0_sel:DWORD src1_sel:WORD_0
	v_sub_f32_e32 v34, v34, v46
	v_sub_f32_e32 v28, v28, v30
	v_fmamk_f32 v55, v31, 0x3f737871, v8
	v_fmac_f32_e32 v8, 0xbf737871, v31
	v_add_f32_e32 v25, v25, v30
	v_mov_b32_e32 v30, 0x64
	v_add_f32_e32 v28, v34, v28
	v_fmac_f32_e32 v55, 0xbf167918, v19
	v_fmac_f32_e32 v8, 0x3f167918, v19
	v_lshlrev_b32_sdwa v41, v11, v51 dst_sel:DWORD dst_unused:UNUSED_PAD src0_sel:DWORD src1_sel:WORD_0
	v_fmamk_f32 v51, v19, 0xbf737871, v49
	v_fmac_f32_e32 v49, 0x3f737871, v19
	v_mul_u32_u24_sdwa v19, v53, v30 dst_sel:DWORD dst_unused:UNUSED_PAD src0_sel:WORD_0 src1_sel:DWORD
	v_fmac_f32_e32 v55, 0x3e9e377a, v28
	v_fmac_f32_e32 v8, 0x3e9e377a, v28
	v_mul_u32_u24_e32 v28, 0x64, v50
	v_mul_u32_u24_e32 v30, 0x64, v54
	v_add3_u32 v19, 0, v19, v45
	v_fmac_f32_e32 v51, 0xbf167918, v31
	v_fmac_f32_e32 v49, 0x3f167918, v31
	v_add3_u32 v28, 0, v28, v41
	v_mov_b32_e32 v31, 0x47af
	ds_write2_b32 v19, v9, v38 offset1:5
	ds_write2_b32 v19, v57, v6 offset0:10 offset1:15
	ds_write_b32 v19, v32 offset:80
	v_add3_u32 v6, 0, v30, v48
	v_lshrrev_b16 v54, 10, v18
	ds_write2_b32 v28, v5, v43 offset1:5
	ds_write2_b32 v28, v56, v7 offset0:10 offset1:15
	ds_write_b32 v28, v44 offset:80
	ds_write2_b32 v6, v26, v39 offset1:5
	ds_write2_b32 v6, v47, v4 offset0:10 offset1:15
	v_mul_u32_u24_sdwa v4, v21, v31 dst_sel:DWORD dst_unused:UNUSED_PAD src0_sel:WORD_0 src1_sel:DWORD
	v_fmac_f32_e32 v51, 0x3e9e377a, v40
	v_fmac_f32_e32 v49, 0x3e9e377a, v40
	ds_write_b32 v6, v10 offset:80
	s_waitcnt lgkmcnt(0)
	v_lshrrev_b32_e32 v7, 16, v4
	s_barrier
	buffer_gl0_inv
	ds_read2_b32 v[9:10], v0 offset1:225
	ds_read2_b32 v[4:5], v20 offset0:2 offset1:227
	ds_read2_b32 v[39:40], v15 offset0:6 offset1:231
	;; [unrolled: 1-line block ×6, first 2 shown]
	ds_read_b32 v53, v0 offset:12600
	v_sub_nc_u16 v26, v21, v7
	s_waitcnt lgkmcnt(0)
	s_barrier
	buffer_gl0_inv
	ds_write2_b32 v19, v33, v36 offset1:5
	ds_write2_b32 v19, v52, v23 offset0:10 offset1:15
	ds_write_b32 v19, v35 offset:80
	v_lshrrev_b16 v26, 1, v26
	ds_write2_b32 v28, v27, v37 offset1:5
	ds_write2_b32 v28, v58, v24 offset0:10 offset1:15
	ds_write_b32 v28, v29 offset:80
	ds_write2_b32 v6, v25, v51 offset1:5
	ds_write2_b32 v6, v55, v8 offset0:10 offset1:15
	ds_write_b32 v6, v49 offset:80
	s_waitcnt lgkmcnt(0)
	s_barrier
	v_add_nc_u16 v7, v26, v7
	buffer_gl0_inv
	v_mul_u32_u24_sdwa v6, v22, v31 dst_sel:DWORD dst_unused:UNUSED_PAD src0_sel:WORD_0 src1_sel:DWORD
	v_lshrrev_b16 v52, 4, v7
	v_mul_lo_u16 v7, v54, 25
	v_lshrrev_b32_e32 v6, 16, v6
	v_mul_lo_u16 v18, v52, 25
	v_sub_nc_u16 v56, v3, v7
	v_sub_nc_u16 v7, v22, v6
	;; [unrolled: 1-line block ×3, first 2 shown]
	v_lshlrev_b32_sdwa v8, v12, v56 dst_sel:DWORD dst_unused:UNUSED_PAD src0_sel:DWORD src1_sel:BYTE_0
	v_lshrrev_b16 v7, 1, v7
	v_lshlrev_b32_sdwa v55, v12, v51 dst_sel:DWORD dst_unused:UNUSED_PAD src0_sel:DWORD src1_sel:WORD_0
	s_clause 0x1
	global_load_dwordx4 v[23:26], v8, s[8:9] offset:160
	global_load_dwordx4 v[27:30], v55, s[8:9] offset:160
	v_add_nc_u16 v6, v7, v6
	v_lshrrev_b16 v57, 4, v6
	v_mul_lo_u16 v6, v57, 25
	v_sub_nc_u16 v58, v22, v6
	ds_read2_b32 v[6:7], v20 offset0:2 offset1:227
	ds_read2_b32 v[18:19], v15 offset0:6 offset1:231
	;; [unrolled: 1-line block ×3, first 2 shown]
	global_load_dwordx4 v[35:38], v8, s[8:9] offset:176
	v_lshlrev_b32_sdwa v12, v12, v58 dst_sel:DWORD dst_unused:UNUSED_PAD src0_sel:DWORD src1_sel:WORD_0
	global_load_dwordx4 v[31:34], v12, s[8:9] offset:160
	s_waitcnt vmcnt(3) lgkmcnt(2)
	v_mul_f32_e32 v8, v7, v24
	v_mul_f32_e32 v17, v5, v24
	s_waitcnt lgkmcnt(1)
	v_mul_f32_e32 v15, v18, v26
	v_mul_f32_e32 v59, v39, v26
	s_waitcnt vmcnt(2)
	v_mul_f32_e32 v24, v19, v30
	v_fma_f32 v5, v5, v23, -v8
	v_fmac_f32_e32 v17, v7, v23
	v_fma_f32 v39, v39, v25, -v15
	v_fmac_f32_e32 v59, v18, v25
	s_waitcnt lgkmcnt(0)
	v_mul_f32_e32 v7, v49, v28
	v_mul_f32_e32 v18, v45, v28
	;; [unrolled: 1-line block ×3, first 2 shown]
	v_fma_f32 v40, v40, v29, -v24
	global_load_dwordx4 v[23:26], v55, s[8:9] offset:176
	v_fma_f32 v45, v45, v27, -v7
	v_fmac_f32_e32 v18, v49, v27
	v_fmac_f32_e32 v60, v19, v29
	global_load_dwordx4 v[27:30], v12, s[8:9] offset:176
	ds_read2_b32 v[7:8], v13 offset0:8 offset1:233
	ds_read2_b32 v[12:13], v14 offset0:12 offset1:237
	v_sub_f32_e32 v49, v40, v45
	s_waitcnt vmcnt(2)
	v_mul_f32_e32 v15, v50, v32
	v_mul_f32_e32 v32, v46, v32
	v_fma_f32 v19, v46, v31, -v15
	ds_read2_b32 v[14:15], v16 offset0:10 offset1:235
	v_fmac_f32_e32 v32, v50, v31
	v_mul_f32_e32 v31, v41, v34
	v_sub_f32_e32 v46, v45, v40
	s_waitcnt lgkmcnt(2)
	v_mul_f32_e32 v16, v7, v34
	v_mul_f32_e32 v34, v42, v36
	v_fmac_f32_e32 v31, v7, v33
	v_mul_f32_e32 v7, v8, v36
	s_waitcnt lgkmcnt(1)
	v_mul_f32_e32 v36, v12, v38
	v_fma_f32 v16, v41, v33, -v16
	ds_read_b32 v33, v0 offset:12600
	v_mul_f32_e32 v38, v43, v38
	v_fma_f32 v41, v42, v35, -v7
	v_fmac_f32_e32 v34, v8, v35
	ds_read2_b32 v[7:8], v0 offset1:225
	v_fma_f32 v36, v43, v37, -v36
	v_fmac_f32_e32 v38, v12, v37
	v_add_f32_e32 v43, v10, v45
	v_add_f32_e32 v55, v39, v41
	v_sub_f32_e32 v61, v59, v34
	s_waitcnt vmcnt(0) lgkmcnt(0)
	s_barrier
	v_add_f32_e32 v43, v43, v40
	buffer_gl0_inv
	v_mul_f32_e32 v35, v13, v26
	v_mul_f32_e32 v12, v14, v24
	;; [unrolled: 1-line block ×5, first 2 shown]
	v_fma_f32 v35, v44, v25, -v35
	v_mul_f32_e32 v28, v48, v28
	v_mul_f32_e32 v42, v33, v30
	v_fmac_f32_e32 v26, v13, v25
	v_mul_f32_e32 v13, v53, v30
	v_fma_f32 v12, v47, v23, -v12
	v_fmac_f32_e32 v24, v14, v23
	v_fma_f32 v14, v48, v27, -v37
	v_fmac_f32_e32 v28, v15, v27
	;; [unrolled: 2-line block ×3, first 2 shown]
	v_sub_f32_e32 v27, v39, v5
	v_sub_f32_e32 v29, v41, v36
	;; [unrolled: 1-line block ×9, first 2 shown]
	v_add_f32_e32 v44, v40, v12
	v_add_f32_e32 v48, v45, v35
	v_sub_f32_e32 v50, v12, v35
	v_add_f32_e32 v27, v27, v29
	v_add_f32_e32 v29, v60, v24
	;; [unrolled: 1-line block ×3, first 2 shown]
	v_sub_f32_e32 v33, v18, v60
	v_add_f32_e32 v37, v37, v42
	v_sub_f32_e32 v42, v26, v24
	v_add_f32_e32 v46, v46, v47
	v_add_f32_e32 v47, v18, v26
	;; [unrolled: 1-line block ×4, first 2 shown]
	v_fma_f32 v44, -0.5, v44, v10
	v_fmac_f32_e32 v10, -0.5, v48
	v_sub_f32_e32 v48, v60, v18
	v_add_f32_e32 v49, v49, v50
	v_sub_f32_e32 v50, v24, v26
	v_add_f32_e32 v33, v33, v42
	v_sub_f32_e32 v42, v19, v16
	v_fma_f32 v29, -0.5, v29, v8
	v_fmac_f32_e32 v8, -0.5, v47
	v_sub_f32_e32 v47, v15, v14
	v_add_f32_e32 v48, v48, v50
	v_add_f32_e32 v50, v16, v14
	;; [unrolled: 1-line block ×6, first 2 shown]
	v_fma_f32 v50, -0.5, v50, v4
	v_sub_f32_e32 v40, v40, v12
	v_add_f32_e32 v12, v43, v12
	v_sub_f32_e32 v43, v60, v24
	v_fmac_f32_e32 v4, -0.5, v47
	v_add_f32_e32 v47, v9, v5
	v_add_f32_e32 v24, v25, v24
	;; [unrolled: 1-line block ×3, first 2 shown]
	v_sub_f32_e32 v5, v5, v36
	v_add_f32_e32 v12, v12, v35
	v_add_f32_e32 v47, v47, v39
	v_sub_f32_e32 v39, v39, v41
	v_add_f32_e32 v41, v47, v41
	v_add_f32_e32 v47, v7, v17
	;; [unrolled: 1-line block ×5, first 2 shown]
	v_fma_f32 v41, -0.5, v55, v9
	v_fma_f32 v9, -0.5, v25, v9
	v_sub_f32_e32 v25, v17, v38
	v_add_f32_e32 v17, v17, v38
	v_add_f32_e32 v34, v47, v34
	v_fma_f32 v59, -0.5, v59, v7
	v_fmamk_f32 v55, v61, 0xbf737871, v9
	v_fmamk_f32 v47, v25, 0x3f737871, v41
	v_fmac_f32_e32 v41, 0xbf737871, v25
	v_fma_f32 v7, -0.5, v17, v7
	v_fmac_f32_e32 v9, 0x3f737871, v61
	v_fmamk_f32 v17, v5, 0xbf737871, v59
	v_fmac_f32_e32 v47, 0x3f167918, v61
	v_fmac_f32_e32 v41, 0xbf167918, v61
	v_fmamk_f32 v61, v39, 0x3f737871, v7
	v_fmac_f32_e32 v7, 0xbf737871, v39
	v_fmac_f32_e32 v59, 0x3f737871, v5
	v_add_f32_e32 v60, v34, v38
	v_fmamk_f32 v34, v43, 0xbf737871, v10
	v_fmac_f32_e32 v61, 0xbf167918, v5
	v_fmac_f32_e32 v7, 0x3f167918, v5
	v_sub_f32_e32 v5, v18, v26
	v_sub_f32_e32 v18, v45, v35
	v_fmac_f32_e32 v10, 0x3f737871, v43
	v_fmac_f32_e32 v55, 0x3f167918, v25
	;; [unrolled: 1-line block ×3, first 2 shown]
	v_fmamk_f32 v25, v5, 0x3f737871, v44
	v_fmamk_f32 v45, v18, 0xbf737871, v29
	v_fmac_f32_e32 v29, 0x3f737871, v18
	v_fmac_f32_e32 v44, 0xbf737871, v5
	v_lshlrev_b32_sdwa v35, v11, v56 dst_sel:DWORD dst_unused:UNUSED_PAD src0_sel:DWORD src1_sel:BYTE_0
	v_lshlrev_b32_sdwa v38, v11, v51 dst_sel:DWORD dst_unused:UNUSED_PAD src0_sel:DWORD src1_sel:WORD_0
	v_fmac_f32_e32 v34, 0x3f167918, v5
	v_fmac_f32_e32 v10, 0xbf167918, v5
	v_add_f32_e32 v51, v24, v26
	v_fmamk_f32 v56, v40, 0x3f737871, v8
	v_fmac_f32_e32 v8, 0xbf737871, v40
	v_fmac_f32_e32 v45, 0xbf167918, v40
	;; [unrolled: 1-line block ×3, first 2 shown]
	v_sub_f32_e32 v5, v32, v13
	v_add_f32_e32 v24, v53, v16
	v_fmac_f32_e32 v17, 0xbf167918, v39
	v_fmac_f32_e32 v59, 0x3f167918, v39
	;; [unrolled: 1-line block ×4, first 2 shown]
	v_sub_f32_e32 v18, v31, v28
	v_fmac_f32_e32 v55, 0x3e9e377a, v27
	v_fmac_f32_e32 v9, 0x3e9e377a, v27
	v_add_f32_e32 v24, v24, v14
	v_fmamk_f32 v27, v5, 0x3f737871, v50
	v_fmac_f32_e32 v50, 0xbf737871, v5
	v_fmac_f32_e32 v45, 0x3e9e377a, v33
	;; [unrolled: 1-line block ×3, first 2 shown]
	v_add_f32_e32 v33, v6, v32
	v_fmac_f32_e32 v25, 0x3f167918, v43
	v_fmac_f32_e32 v44, 0xbf167918, v43
	;; [unrolled: 1-line block ×4, first 2 shown]
	v_add_f32_e32 v37, v31, v28
	v_fmac_f32_e32 v47, 0x3e9e377a, v23
	v_fmac_f32_e32 v41, 0x3e9e377a, v23
	v_sub_f32_e32 v23, v16, v19
	v_sub_f32_e32 v26, v14, v15
	v_fmac_f32_e32 v17, 0x3e9e377a, v30
	v_fmac_f32_e32 v59, 0x3e9e377a, v30
	v_fmamk_f32 v30, v18, 0xbf737871, v4
	v_add_f32_e32 v24, v24, v15
	v_fmac_f32_e32 v27, 0x3f167918, v18
	v_fmac_f32_e32 v50, 0xbf167918, v18
	;; [unrolled: 1-line block ×3, first 2 shown]
	v_add_f32_e32 v18, v33, v31
	v_sub_f32_e32 v15, v19, v15
	v_add_f32_e32 v19, v32, v13
	v_fmac_f32_e32 v25, 0x3e9e377a, v46
	v_fmac_f32_e32 v44, 0x3e9e377a, v46
	v_fma_f32 v46, -0.5, v37, v6
	v_fmac_f32_e32 v30, 0x3f167918, v5
	v_add_f32_e32 v23, v23, v26
	v_fmac_f32_e32 v4, 0xbf167918, v5
	v_add_f32_e32 v5, v18, v28
	v_sub_f32_e32 v14, v16, v14
	v_sub_f32_e32 v16, v32, v31
	;; [unrolled: 1-line block ×3, first 2 shown]
	v_fmac_f32_e32 v6, -0.5, v19
	v_fmamk_f32 v18, v15, 0xbf737871, v46
	v_fmac_f32_e32 v46, 0x3f737871, v15
	v_fmac_f32_e32 v30, 0x3e9e377a, v23
	;; [unrolled: 1-line block ×3, first 2 shown]
	v_add_f32_e32 v19, v5, v13
	v_add_f32_e32 v5, v16, v26
	v_fmamk_f32 v16, v14, 0x3f737871, v6
	v_sub_f32_e32 v23, v31, v32
	v_sub_f32_e32 v13, v28, v13
	v_fmac_f32_e32 v6, 0xbf737871, v14
	v_fmac_f32_e32 v18, 0xbf167918, v14
	;; [unrolled: 1-line block ×3, first 2 shown]
	v_mov_b32_e32 v14, 0x1f4
	v_fmac_f32_e32 v16, 0xbf167918, v15
	v_add_f32_e32 v13, v23, v13
	v_fmac_f32_e32 v6, 0x3f167918, v15
	v_fmac_f32_e32 v18, 0x3e9e377a, v5
	;; [unrolled: 1-line block ×3, first 2 shown]
	v_mul_u32_u24_sdwa v5, v54, v14 dst_sel:DWORD dst_unused:UNUSED_PAD src0_sel:WORD_0 src1_sel:DWORD
	v_fmac_f32_e32 v16, 0x3e9e377a, v13
	v_fmac_f32_e32 v6, 0x3e9e377a, v13
	v_mul_u32_u24_sdwa v13, v52, v14 dst_sel:DWORD dst_unused:UNUSED_PAD src0_sel:WORD_0 src1_sel:DWORD
	v_lshlrev_b32_sdwa v39, v11, v58 dst_sel:DWORD dst_unused:UNUSED_PAD src0_sel:DWORD src1_sel:WORD_0
	v_add3_u32 v5, 0, v5, v35
	v_mul_u32_u24_sdwa v14, v57, v14 dst_sel:DWORD dst_unused:UNUSED_PAD src0_sel:WORD_0 src1_sel:DWORD
	v_fmac_f32_e32 v34, 0x3e9e377a, v49
	v_add3_u32 v13, 0, v13, v38
	v_fmac_f32_e32 v10, 0x3e9e377a, v49
	v_mov_b32_e32 v52, 0x625
	v_fmac_f32_e32 v27, 0x3e9e377a, v42
	ds_write2_b32 v5, v36, v47 offset1:25
	ds_write2_b32 v5, v55, v9 offset0:50 offset1:75
	v_add3_u32 v9, 0, v14, v39
	v_fmac_f32_e32 v50, 0x3e9e377a, v42
	ds_write_b32 v5, v41 offset:400
	ds_write2_b32 v13, v12, v25 offset1:25
	ds_write2_b32 v13, v34, v10 offset0:50 offset1:75
	ds_write_b32 v13, v44 offset:400
	ds_write2_b32 v9, v24, v27 offset1:25
	ds_write2_b32 v9, v30, v4 offset0:50 offset1:75
	ds_write_b32 v9, v50 offset:400
	v_add_nc_u32_e32 v4, 0xffffff83, v3
	v_mul_u32_u24_sdwa v10, v21, v52 dst_sel:DWORD dst_unused:UNUSED_PAD src0_sel:WORD_0 src1_sel:DWORD
	v_add_nc_u32_e32 v25, 0x1f80, v0
	v_add_nc_u32_e32 v23, 0x2680, v0
	;; [unrolled: 1-line block ×3, first 2 shown]
	v_cndmask_b32_e64 v53, v4, v3, s0
	v_add_nc_u32_e32 v26, 0x1880, v0
	v_add_nc_u32_e32 v27, 0x2d80, v0
	v_lshrrev_b32_e32 v10, 16, v10
	v_lshl_add_u32 v28, v3, 2, 0
	s_waitcnt lgkmcnt(0)
	s_barrier
	buffer_gl0_inv
	ds_read2_b32 v[33:34], v0 offset1:225
	ds_read2_b32 v[31:32], v24 offset0:5 offset1:230
	ds_read2_b32 v[35:36], v25 offset0:9 offset1:234
	;; [unrolled: 1-line block ×6, first 2 shown]
	ds_read_b32 v50, v28 offset:3600
	s_waitcnt lgkmcnt(0)
	s_barrier
	buffer_gl0_inv
	ds_write2_b32 v5, v60, v17 offset1:25
	ds_write2_b32 v5, v61, v7 offset0:50 offset1:75
	ds_write_b32 v5, v59 offset:400
	v_lshlrev_b32_e32 v4, 1, v53
	v_mov_b32_e32 v5, 0
	v_fmac_f32_e32 v56, 0x3e9e377a, v48
	v_fmac_f32_e32 v8, 0x3e9e377a, v48
	v_sub_nc_u16 v12, v21, v10
	ds_write2_b32 v13, v51, v45 offset1:25
	ds_write2_b32 v13, v56, v8 offset0:50 offset1:75
	ds_write_b32 v13, v29 offset:400
	v_lshlrev_b64 v[7:8], 3, v[4:5]
	v_lshrrev_b16 v4, 1, v12
	ds_write2_b32 v9, v19, v18 offset1:25
	ds_write2_b32 v9, v16, v6 offset0:50 offset1:75
	ds_write_b32 v9, v46 offset:400
	s_waitcnt lgkmcnt(0)
	s_barrier
	buffer_gl0_inv
	v_add_co_u32 v6, s0, s8, v7
	v_add_co_ci_u32_e64 v7, s0, s9, v8, s0
	v_add_nc_u16 v4, v4, v10
	ds_read2_b32 v[45:46], v24 offset0:5 offset1:230
	ds_read2_b32 v[47:48], v25 offset0:9 offset1:234
	global_load_dwordx4 v[7:10], v[6:7], off offset:960
	v_mov_b32_e32 v6, 4
	v_lshrrev_b16 v51, 6, v4
	v_add_nc_u32_e32 v30, 0x2a3, v3
	v_cmp_lt_u32_e64 s0, 0x7c, v3
	v_mul_lo_u16 v4, 0x7d, v51
	v_sub_nc_u16 v54, v21, v4
	v_lshlrev_b32_sdwa v4, v6, v54 dst_sel:DWORD dst_unused:UNUSED_PAD src0_sel:DWORD src1_sel:WORD_0
	global_load_dwordx4 v[12:15], v4, s[8:9] offset:960
	v_mul_u32_u24_sdwa v4, v22, v52 dst_sel:DWORD dst_unused:UNUSED_PAD src0_sel:WORD_0 src1_sel:DWORD
	v_lshrrev_b32_e32 v4, 16, v4
	v_sub_nc_u16 v16, v22, v4
	v_lshrrev_b16 v16, 1, v16
	v_add_nc_u16 v4, v16, v4
	v_lshrrev_b16 v55, 6, v4
	v_mul_lo_u16 v4, 0x7d, v55
	v_sub_nc_u16 v56, v22, v4
	v_mul_u32_u24_sdwa v4, v30, v52 dst_sel:DWORD dst_unused:UNUSED_PAD src0_sel:WORD_0 src1_sel:DWORD
	v_lshlrev_b32_sdwa v16, v6, v56 dst_sel:DWORD dst_unused:UNUSED_PAD src0_sel:DWORD src1_sel:WORD_0
	v_lshrrev_b32_e32 v4, 16, v4
	global_load_dwordx4 v[16:19], v16, s[8:9] offset:960
	v_sub_nc_u16 v29, v30, v4
	s_waitcnt vmcnt(2) lgkmcnt(1)
	v_mul_f32_e32 v49, v45, v8
	v_mul_f32_e32 v57, v31, v8
	s_waitcnt lgkmcnt(0)
	v_mul_f32_e32 v8, v48, v10
	v_mul_f32_e32 v58, v36, v10
	v_lshrrev_b16 v10, 1, v29
	v_fma_f32 v59, v31, v7, -v49
	v_fmac_f32_e32 v57, v45, v7
	v_fma_f32 v36, v36, v9, -v8
	v_fmac_f32_e32 v58, v48, v9
	v_add_nc_u16 v4, v10, v4
	ds_read2_b32 v[48:49], v23 offset0:11 offset1:236
	v_add_nc_u32_e32 v29, 0x384, v3
	v_lshrrev_b16 v45, 6, v4
	v_mul_lo_u16 v4, 0x7d, v45
	s_waitcnt vmcnt(1)
	v_mul_f32_e32 v7, v46, v13
	v_mul_f32_e32 v60, v32, v13
	v_sub_nc_u16 v61, v30, v4
	v_mul_f32_e32 v63, v37, v15
	v_fma_f32 v62, v32, v12, -v7
	v_fmac_f32_e32 v60, v46, v12
	v_lshlrev_b32_sdwa v7, v6, v61 dst_sel:DWORD dst_unused:UNUSED_PAD src0_sel:DWORD src1_sel:WORD_0
	ds_read2_b32 v[12:13], v26 offset0:7 offset1:232
	s_waitcnt lgkmcnt(1)
	v_mul_f32_e32 v4, v48, v15
	v_fmac_f32_e32 v63, v48, v14
	global_load_dwordx4 v[7:10], v7, s[8:9] offset:960
	v_fma_f32 v37, v37, v14, -v4
	ds_read2_b32 v[14:15], v27 offset0:13 offset1:238
	s_waitcnt vmcnt(1)
	v_mul_f32_e32 v4, v49, v19
	v_mul_f32_e32 v19, v38, v19
	v_fma_f32 v38, v38, v18, -v4
	s_waitcnt lgkmcnt(1)
	v_mul_f32_e32 v4, v12, v17
	v_fmac_f32_e32 v19, v49, v18
	v_mul_f32_e32 v17, v41, v17
	v_fma_f32 v18, v41, v16, -v4
	v_mul_u32_u24_sdwa v4, v29, v52 dst_sel:DWORD dst_unused:UNUSED_PAD src0_sel:WORD_0 src1_sel:DWORD
	v_fmac_f32_e32 v17, v12, v16
	v_lshrrev_b32_e32 v4, 16, v4
	s_waitcnt vmcnt(0)
	v_mul_f32_e32 v12, v13, v8
	v_mul_f32_e32 v41, v42, v8
	v_sub_nc_u16 v8, v29, v4
	v_fma_f32 v16, v42, v7, -v12
	v_fmac_f32_e32 v41, v13, v7
	v_lshrrev_b16 v8, 1, v8
	s_waitcnt lgkmcnt(0)
	v_mul_f32_e32 v7, v14, v10
	v_mul_f32_e32 v42, v43, v10
	v_cndmask_b32_e64 v12, 0, 0x5dc, s0
	v_lshlrev_b32_e32 v13, 2, v53
	v_add_nc_u16 v4, v8, v4
	v_fma_f32 v43, v43, v9, -v7
	v_fmac_f32_e32 v42, v14, v9
	v_mov_b32_e32 v14, 0x5dc
	v_add3_u32 v48, 0, v12, v13
	v_lshrrev_b16 v10, 6, v4
	v_lshlrev_b32_e32 v4, 1, v3
	v_add_f32_e32 v53, v57, v58
	v_mul_u32_u24_sdwa v13, v55, v14 dst_sel:DWORD dst_unused:UNUSED_PAD src0_sel:WORD_0 src1_sel:DWORD
	v_mul_u32_u24_sdwa v45, v45, v14 dst_sel:DWORD dst_unused:UNUSED_PAD src0_sel:WORD_0 src1_sel:DWORD
	v_mul_lo_u16 v9, 0x7d, v10
	v_lshlrev_b64 v[7:8], 3, v[4:5]
	v_add_f32_e32 v55, v34, v62
	v_add_nc_u32_e32 v4, 0x96, v4
	v_sub_nc_u16 v12, v29, v9
	v_add_co_u32 v31, s0, s8, v7
	v_add_co_ci_u32_e64 v32, s0, s9, v8, s0
	v_mul_u32_u24_sdwa v7, v51, v14 dst_sel:DWORD dst_unused:UNUSED_PAD src0_sel:WORD_0 src1_sel:DWORD
	v_lshlrev_b32_sdwa v8, v11, v54 dst_sel:DWORD dst_unused:UNUSED_PAD src0_sel:DWORD src1_sel:WORD_0
	v_lshlrev_b32_sdwa v9, v6, v12 dst_sel:DWORD dst_unused:UNUSED_PAD src0_sel:DWORD src1_sel:WORD_0
	v_mul_u32_u24_sdwa v14, v10, v14 dst_sel:DWORD dst_unused:UNUSED_PAD src0_sel:WORD_0 src1_sel:DWORD
	v_lshlrev_b32_sdwa v12, v11, v12 dst_sel:DWORD dst_unused:UNUSED_PAD src0_sel:DWORD src1_sel:WORD_0
	v_sub_f32_e32 v54, v59, v36
	v_add3_u32 v49, 0, v7, v8
	global_load_dwordx4 v[7:10], v9, s[8:9] offset:960
	v_cmp_gt_u32_e64 s0, 0x96, v3
	v_add3_u32 v52, 0, v14, v12
	s_waitcnt vmcnt(0)
	v_mul_f32_e32 v46, v47, v8
	v_fma_f32 v46, v35, v7, -v46
	v_mul_f32_e32 v35, v35, v8
	v_lshlrev_b32_sdwa v8, v11, v56 dst_sel:DWORD dst_unused:UNUSED_PAD src0_sel:DWORD src1_sel:WORD_0
	v_add_f32_e32 v56, v62, v37
	v_fmac_f32_e32 v35, v47, v7
	v_add3_u32 v51, 0, v13, v8
	ds_read2_b32 v[7:8], v0 offset1:225
	v_lshlrev_b32_sdwa v13, v11, v61 dst_sel:DWORD dst_unused:UNUSED_PAD src0_sel:DWORD src1_sel:WORD_0
	ds_read_b32 v61, v28 offset:3600
	v_fmac_f32_e32 v34, -0.5, v56
	v_add_f32_e32 v56, v18, v38
	v_add3_u32 v47, 0, v45, v13
	v_mul_f32_e32 v13, v15, v10
	v_mul_f32_e32 v10, v44, v10
	v_fma_f32 v14, v44, v9, -v13
	ds_read2_b32 v[12:13], v20 offset0:2 offset1:227
	v_fmac_f32_e32 v10, v15, v9
	v_add_f32_e32 v9, v33, v59
	v_add_f32_e32 v15, v59, v36
	v_sub_f32_e32 v44, v57, v58
	v_sub_f32_e32 v59, v62, v37
	v_add_f32_e32 v37, v55, v37
	s_waitcnt lgkmcnt(2)
	v_add_f32_e32 v45, v7, v57
	v_add_f32_e32 v55, v39, v18
	v_sub_f32_e32 v18, v18, v38
	v_add_f32_e32 v9, v9, v36
	v_sub_f32_e32 v36, v60, v63
	v_add_f32_e32 v57, v45, v58
	v_add_f32_e32 v58, v60, v63
	;; [unrolled: 1-line block ×5, first 2 shown]
	v_fma_f32 v7, -0.5, v53, v7
	v_fmac_f32_e32 v8, -0.5, v58
	v_add_f32_e32 v60, v45, v63
	s_waitcnt lgkmcnt(0)
	v_add_f32_e32 v58, v12, v17
	v_sub_f32_e32 v45, v17, v19
	v_add_f32_e32 v17, v17, v19
	v_fmamk_f32 v53, v59, 0xbf5db3d7, v8
	v_fmac_f32_e32 v8, 0x3f5db3d7, v59
	v_add_f32_e32 v19, v58, v19
	v_add_f32_e32 v58, v16, v43
	v_sub_f32_e32 v16, v16, v43
	v_add_f32_e32 v43, v55, v43
	v_add_f32_e32 v55, v13, v41
	v_fma_f32 v12, -0.5, v17, v12
	v_fmac_f32_e32 v40, -0.5, v58
	v_add_f32_e32 v58, v41, v42
	v_sub_f32_e32 v41, v41, v42
	v_add_f32_e32 v55, v55, v42
	v_add_f32_e32 v42, v50, v46
	v_fmac_f32_e32 v13, -0.5, v58
	v_add_f32_e32 v58, v46, v14
	v_sub_f32_e32 v46, v46, v14
	v_add_f32_e32 v42, v42, v14
	v_add_f32_e32 v14, v61, v35
	s_barrier
	v_fmac_f32_e32 v50, -0.5, v58
	v_sub_f32_e32 v58, v35, v10
	v_add_f32_e32 v35, v35, v10
	v_add_f32_e32 v62, v14, v10
	v_fma_f32 v10, -0.5, v15, v33
	v_add_nc_u32_e32 v15, 0xffffff6a, v3
	v_fma_f32 v33, -0.5, v56, v39
	v_fmac_f32_e32 v61, -0.5, v35
	v_fmamk_f32 v35, v36, 0x3f5db3d7, v34
	v_fmamk_f32 v14, v44, 0x3f5db3d7, v10
	v_fmac_f32_e32 v10, 0xbf5db3d7, v44
	v_fmac_f32_e32 v34, 0xbf5db3d7, v36
	v_cndmask_b32_e64 v59, v15, v21, s0
	v_fmamk_f32 v36, v45, 0x3f5db3d7, v33
	buffer_gl0_inv
	ds_write2_b32 v48, v9, v14 offset1:125
	v_add_co_u32 v9, s0, 0x800, v31
	v_fmac_f32_e32 v33, 0xbf5db3d7, v45
	v_fmamk_f32 v17, v54, 0xbf5db3d7, v7
	v_fmac_f32_e32 v7, 0x3f5db3d7, v54
	v_fmamk_f32 v54, v18, 0xbf5db3d7, v12
	;; [unrolled: 2-line block ×5, first 2 shown]
	v_fmac_f32_e32 v50, 0xbf5db3d7, v58
	ds_write_b32 v48, v10 offset:1000
	ds_write2_b32 v49, v37, v35 offset1:125
	ds_write_b32 v49, v34 offset:1000
	ds_write2_b32 v51, v38, v36 offset1:125
	;; [unrolled: 2-line block ×4, first 2 shown]
	ds_write_b32 v52, v50 offset:1000
	v_add_co_ci_u32_e64 v10, s0, 0, v32, s0
	v_mov_b32_e32 v15, v5
	v_lshlrev_b32_e32 v14, 1, v59
	v_fmamk_f32 v58, v46, 0xbf5db3d7, v61
	v_fmac_f32_e32 v61, 0x3f5db3d7, v46
	s_waitcnt lgkmcnt(0)
	s_barrier
	buffer_gl0_inv
	ds_read2_b32 v[33:34], v0 offset1:225
	ds_read2_b32 v[35:36], v24 offset0:5 offset1:230
	ds_read2_b32 v[37:38], v25 offset0:9 offset1:234
	;; [unrolled: 1-line block ×6, first 2 shown]
	ds_read_b32 v63, v28 offset:3600
	s_waitcnt lgkmcnt(0)
	s_barrier
	buffer_gl0_inv
	ds_write2_b32 v48, v57, v17 offset1:125
	ds_write_b32 v48, v7 offset:1000
	ds_write2_b32 v49, v60, v53 offset1:125
	ds_write_b32 v49, v8 offset:1000
	;; [unrolled: 2-line block ×5, first 2 shown]
	s_waitcnt lgkmcnt(0)
	s_barrier
	buffer_gl0_inv
	global_load_dwordx4 v[7:10], v[9:10], off offset:912
	v_lshlrev_b64 v[12:13], 3, v[14:15]
	v_lshlrev_b64 v[16:17], 3, v[4:5]
	v_add_co_u32 v12, s0, s8, v12
	v_add_co_ci_u32_e64 v13, s0, s9, v13, s0
	v_add_co_u32 v12, s0, 0x800, v12
	v_add_co_ci_u32_e64 v13, s0, 0, v13, s0
	;; [unrolled: 2-line block ×3, first 2 shown]
	global_load_dwordx4 v[12:15], v[12:13], off offset:912
	v_add_co_u32 v16, s0, 0x800, v4
	v_add_co_ci_u32_e64 v17, s0, 0, v17, s0
	v_mov_b32_e32 v4, 0x5d87
	global_load_dwordx4 v[16:19], v[16:17], off offset:912
	v_mul_u32_u24_sdwa v47, v30, v4 dst_sel:DWORD dst_unused:UNUSED_PAD src0_sel:WORD_0 src1_sel:DWORD
	v_mul_u32_u24_sdwa v4, v29, v4 dst_sel:DWORD dst_unused:UNUSED_PAD src0_sel:WORD_0 src1_sel:DWORD
	v_lshrrev_b32_e32 v51, 16, v47
	ds_read2_b32 v[47:48], v24 offset0:5 offset1:230
	ds_read2_b32 v[49:50], v25 offset0:9 offset1:234
	v_lshrrev_b32_e32 v4, 16, v4
	v_sub_nc_u16 v52, v30, v51
	v_sub_nc_u16 v53, v29, v4
	v_lshrrev_b16 v52, 1, v52
	v_lshrrev_b16 v53, 1, v53
	v_add_nc_u16 v51, v52, v51
	v_add_nc_u16 v4, v53, v4
	v_lshrrev_b16 v51, 8, v51
	v_lshrrev_b16 v4, 8, v4
	v_mul_lo_u16 v52, 0x177, v51
	v_mul_lo_u16 v4, 0x177, v4
	v_sub_nc_u16 v52, v30, v52
	v_sub_nc_u16 v4, v29, v4
	v_lshlrev_b32_sdwa v6, v6, v52 dst_sel:DWORD dst_unused:UNUSED_PAD src0_sel:DWORD src1_sel:WORD_0
	v_lshlrev_b32_sdwa v11, v11, v52 dst_sel:DWORD dst_unused:UNUSED_PAD src0_sel:DWORD src1_sel:WORD_0
	v_and_b32_e32 v4, 0xffff, v4
	v_add_co_u32 v6, s0, s8, v6
	s_waitcnt vmcnt(2) lgkmcnt(1)
	v_mul_f32_e32 v53, v47, v8
	v_mul_f32_e32 v54, v35, v8
	s_waitcnt lgkmcnt(0)
	v_mul_f32_e32 v8, v50, v10
	v_mul_f32_e32 v55, v38, v10
	v_fma_f32 v53, v35, v7, -v53
	v_fmac_f32_e32 v54, v47, v7
	v_fma_f32 v47, v38, v9, -v8
	v_fmac_f32_e32 v55, v50, v9
	ds_read2_b32 v[9:10], v23 offset0:11 offset1:236
	v_add_co_ci_u32_e64 v7, null, s9, 0, s0
	v_add_co_u32 v6, s0, 0x800, v6
	v_add_co_ci_u32_e64 v7, s0, 0, v7, s0
	s_waitcnt vmcnt(1)
	v_mul_f32_e32 v8, v48, v13
	v_mul_f32_e32 v50, v36, v13
	;; [unrolled: 1-line block ×3, first 2 shown]
	v_fma_f32 v56, v36, v12, -v8
	v_fmac_f32_e32 v50, v48, v12
	v_lshlrev_b32_e32 v12, 4, v4
	ds_read2_b32 v[35:36], v26 offset0:7 offset1:232
	s_waitcnt lgkmcnt(1)
	v_mul_f32_e32 v8, v9, v15
	v_fmac_f32_e32 v57, v9, v14
	v_lshl_add_u32 v4, v4, 2, 0
	v_add_co_u32 v12, s0, s8, v12
	v_fma_f32 v48, v39, v14, -v8
	global_load_dwordx4 v[6:9], v[6:7], off offset:912
	v_add_co_ci_u32_e64 v13, null, s9, 0, s0
	v_add_co_u32 v12, s0, 0x800, v12
	s_waitcnt vmcnt(1)
	v_mul_f32_e32 v14, v10, v19
	v_add_co_ci_u32_e64 v13, s0, 0, v13, s0
	v_mul_f32_e32 v19, v40, v19
	v_cmp_lt_u32_e64 s0, 0x95, v3
	v_fma_f32 v40, v40, v18, -v14
	global_load_dwordx4 v[12:15], v[12:13], off offset:912
	v_lshlrev_b32_e32 v39, 2, v59
	v_fmac_f32_e32 v19, v10, v18
	s_waitcnt lgkmcnt(0)
	v_mul_f32_e32 v10, v35, v17
	v_mul_f32_e32 v18, v43, v17
	v_add_f32_e32 v52, v56, v48
	v_fma_f32 v10, v43, v16, -v10
	v_fmac_f32_e32 v18, v35, v16
	v_mov_b32_e32 v16, 0x1194
	v_add_f32_e32 v58, v41, v10
	v_mul_u32_u24_sdwa v38, v51, v16 dst_sel:DWORD dst_unused:UNUSED_PAD src0_sel:WORD_0 src1_sel:DWORD
	v_add3_u32 v51, 0, v38, v11
	s_waitcnt vmcnt(1)
	v_mul_f32_e32 v17, v36, v7
	v_mul_f32_e32 v7, v44, v7
	v_fma_f32 v43, v44, v6, -v17
	ds_read2_b32 v[16:17], v27 offset0:13 offset1:238
	v_fmac_f32_e32 v7, v36, v6
	v_mul_f32_e32 v6, v45, v9
	s_waitcnt lgkmcnt(0)
	v_mul_f32_e32 v35, v16, v9
	v_cndmask_b32_e64 v9, 0, 0x1194, s0
	v_fmac_f32_e32 v6, v16, v8
	s_waitcnt vmcnt(0)
	v_mul_f32_e32 v11, v17, v15
	v_fma_f32 v44, v45, v8, -v35
	ds_read2_b32 v[35:36], v0 offset1:225
	v_add3_u32 v45, 0, v9, v39
	v_mul_f32_e32 v8, v49, v13
	ds_read2_b32 v[38:39], v20 offset0:2 offset1:227
	v_mul_f32_e32 v9, v37, v13
	v_add_f32_e32 v13, v33, v53
	v_fma_f32 v11, v46, v14, -v11
	v_fma_f32 v8, v37, v12, -v8
	ds_read_b32 v37, v28 offset:3600
	v_fmac_f32_e32 v9, v49, v12
	v_mul_f32_e32 v12, v46, v15
	v_sub_f32_e32 v15, v54, v55
	v_add_f32_e32 v49, v34, v56
	v_fmac_f32_e32 v34, -0.5, v52
	v_add_f32_e32 v52, v42, v43
	v_fmac_f32_e32 v12, v17, v14
	v_add_f32_e32 v17, v54, v55
	v_add_f32_e32 v14, v53, v47
	v_sub_f32_e32 v46, v53, v47
	v_sub_f32_e32 v53, v50, v57
	s_waitcnt lgkmcnt(2)
	v_add_f32_e32 v16, v35, v54
	v_add_f32_e32 v54, v36, v50
	;; [unrolled: 1-line block ×5, first 2 shown]
	v_sub_f32_e32 v10, v10, v40
	v_add_f32_e32 v54, v54, v57
	v_add_f32_e32 v57, v43, v44
	;; [unrolled: 1-line block ×3, first 2 shown]
	s_waitcnt lgkmcnt(1)
	v_add_f32_e32 v58, v39, v7
	v_sub_f32_e32 v56, v56, v48
	v_add_f32_e32 v55, v16, v55
	v_sub_f32_e32 v16, v18, v19
	v_add_f32_e32 v48, v49, v48
	v_add_f32_e32 v49, v38, v18
	;; [unrolled: 1-line block ×3, first 2 shown]
	v_sub_f32_e32 v43, v43, v44
	v_add_f32_e32 v44, v52, v44
	v_add_f32_e32 v52, v8, v11
	v_fmac_f32_e32 v36, -0.5, v50
	v_sub_f32_e32 v50, v7, v6
	v_add_f32_e32 v7, v7, v6
	v_fmac_f32_e32 v42, -0.5, v57
	v_sub_f32_e32 v57, v9, v12
	v_add_f32_e32 v58, v58, v6
	s_waitcnt lgkmcnt(0)
	v_add_f32_e32 v6, v37, v9
	v_add_f32_e32 v9, v9, v12
	v_fma_f32 v14, -0.5, v14, v33
	v_add_f32_e32 v49, v49, v19
	v_add_f32_e32 v19, v63, v8
	v_fma_f32 v35, -0.5, v17, v35
	v_fma_f32 v17, -0.5, v47, v41
	;; [unrolled: 1-line block ×3, first 2 shown]
	v_fmac_f32_e32 v63, -0.5, v52
	v_sub_f32_e32 v8, v8, v11
	v_fmac_f32_e32 v39, -0.5, v7
	v_fmac_f32_e32 v37, -0.5, v9
	v_add_f32_e32 v41, v6, v12
	v_fmamk_f32 v6, v15, 0x3f5db3d7, v14
	v_fmac_f32_e32 v14, 0xbf5db3d7, v15
	v_add_f32_e32 v7, v19, v11
	v_fmamk_f32 v9, v53, 0x3f5db3d7, v34
	v_fmamk_f32 v11, v16, 0x3f5db3d7, v17
	v_fmac_f32_e32 v17, 0xbf5db3d7, v16
	v_fmamk_f32 v52, v10, 0xbf5db3d7, v38
	v_fmac_f32_e32 v38, 0x3f5db3d7, v10
	v_fmamk_f32 v10, v50, 0x3f5db3d7, v42
	v_fmamk_f32 v12, v57, 0x3f5db3d7, v63
	s_barrier
	buffer_gl0_inv
	v_fmac_f32_e32 v34, 0xbf5db3d7, v53
	v_fmac_f32_e32 v42, 0xbf5db3d7, v50
	v_fmamk_f32 v50, v43, 0xbf5db3d7, v39
	v_fmac_f32_e32 v39, 0x3f5db3d7, v43
	v_fmac_f32_e32 v63, 0xbf5db3d7, v57
	v_fmamk_f32 v43, v8, 0xbf5db3d7, v37
	v_fmac_f32_e32 v37, 0x3f5db3d7, v8
	ds_write_b32 v0, v13
	ds_write_b32 v0, v6 offset:1500
	ds_write_b32 v0, v14 offset:3000
	ds_write_b32 v45, v48
	ds_write_b32 v45, v9 offset:1500
	ds_write_b32 v45, v34 offset:3000
	;; [unrolled: 1-line block ×5, first 2 shown]
	ds_write_b32 v51, v44
	ds_write_b32 v51, v10 offset:1500
	ds_write_b32 v51, v42 offset:3000
	;; [unrolled: 1-line block ×5, first 2 shown]
	s_waitcnt lgkmcnt(0)
	s_barrier
	buffer_gl0_inv
	ds_read2_b32 v[6:7], v0 offset1:225
	ds_read2_b32 v[12:13], v24 offset0:5 offset1:230
	ds_read2_b32 v[18:19], v25 offset0:9 offset1:234
	;; [unrolled: 1-line block ×6, first 2 shown]
	ds_read_b32 v33, v28 offset:3600
	v_fmamk_f32 v47, v46, 0xbf5db3d7, v35
	v_fmac_f32_e32 v35, 0x3f5db3d7, v46
	v_fmamk_f32 v46, v56, 0xbf5db3d7, v36
	v_fmac_f32_e32 v36, 0x3f5db3d7, v56
	s_waitcnt lgkmcnt(0)
	s_barrier
	buffer_gl0_inv
	ds_write_b32 v0, v55
	ds_write_b32 v0, v47 offset:1500
	ds_write_b32 v0, v35 offset:3000
	ds_write_b32 v45, v54
	ds_write_b32 v45, v46 offset:1500
	ds_write_b32 v45, v36 offset:3000
	;; [unrolled: 1-line block ×5, first 2 shown]
	ds_write_b32 v51, v58
	ds_write_b32 v51, v50 offset:1500
	ds_write_b32 v51, v39 offset:3000
	;; [unrolled: 1-line block ×5, first 2 shown]
	s_waitcnt lgkmcnt(0)
	s_barrier
	buffer_gl0_inv
	s_and_saveexec_b32 s0, vcc_lo
	s_cbranch_execz .LBB0_13
; %bb.12:
	v_lshlrev_b32_e32 v4, 1, v29
	v_add_co_u32 v31, vcc_lo, 0x2000, v31
	v_add_co_ci_u32_e32 v32, vcc_lo, 0, v32, vcc_lo
	v_lshlrev_b64 v[38:39], 3, v[4:5]
	global_load_dwordx4 v[34:37], v[31:32], off offset:768
	v_add_co_u32 v4, vcc_lo, s8, v38
	v_add_co_ci_u32_e32 v32, vcc_lo, s9, v39, vcc_lo
	v_add_co_u32 v31, vcc_lo, 0x2000, v4
	v_add_co_ci_u32_e32 v32, vcc_lo, 0, v32, vcc_lo
	v_lshlrev_b32_e32 v4, 1, v30
	global_load_dwordx4 v[38:41], v[31:32], off offset:768
	v_lshlrev_b64 v[30:31], 3, v[4:5]
	v_add_co_u32 v4, vcc_lo, s8, v30
	v_add_co_ci_u32_e32 v31, vcc_lo, s9, v31, vcc_lo
	v_add_co_u32 v30, vcc_lo, 0x2000, v4
	v_add_co_ci_u32_e32 v31, vcc_lo, 0, v31, vcc_lo
	v_lshlrev_b32_e32 v4, 1, v22
	global_load_dwordx4 v[42:45], v[30:31], off offset:768
	v_lshlrev_b64 v[30:31], 3, v[4:5]
	v_add_co_u32 v4, vcc_lo, s8, v30
	v_add_co_ci_u32_e32 v22, vcc_lo, s9, v31, vcc_lo
	v_add_co_u32 v30, vcc_lo, 0x2000, v4
	v_lshlrev_b32_e32 v4, 1, v21
	v_add_co_ci_u32_e32 v31, vcc_lo, 0, v22, vcc_lo
	v_lshlrev_b64 v[21:22], 3, v[4:5]
	global_load_dwordx4 v[46:49], v[30:31], off offset:768
	v_add_co_u32 v4, vcc_lo, s8, v21
	v_add_co_ci_u32_e32 v22, vcc_lo, s9, v22, vcc_lo
	v_add_co_u32 v21, vcc_lo, 0x2000, v4
	v_add_co_ci_u32_e32 v22, vcc_lo, 0, v22, vcc_lo
	v_mov_b32_e32 v4, v5
	global_load_dwordx4 v[50:53], v[21:22], off offset:768
	ds_read2_b32 v[21:22], v25 offset0:9 offset1:234
	ds_read2_b32 v[24:25], v24 offset0:5 offset1:230
	;; [unrolled: 1-line block ×3, first 2 shown]
	ds_read_b32 v60, v28 offset:3600
	ds_read2_b32 v[26:27], v26 offset0:7 offset1:232
	ds_read2_b32 v[54:55], v20 offset0:2 offset1:227
	v_mul_hi_u32 v20, 0xe90452d5, v29
	v_lshlrev_b64 v[3:4], 3, v[3:4]
	ds_read2_b32 v[56:57], v23 offset0:11 offset1:236
	ds_read2_b32 v[58:59], v0 offset1:225
	v_add_co_u32 v23, vcc_lo, s2, v1
	v_add_co_ci_u32_e32 v28, vcc_lo, s3, v2, vcc_lo
	v_lshrrev_b32_e32 v2, 10, v20
	v_add_co_u32 v0, vcc_lo, v23, v3
	v_add_co_ci_u32_e32 v1, vcc_lo, v28, v4, vcc_lo
	v_mad_u32_u24 v4, 0x8ca, v2, v29
	v_lshlrev_b64 v[2:3], 3, v[4:5]
	v_add_co_u32 v4, vcc_lo, 0x2000, v0
	v_add_co_ci_u32_e32 v5, vcc_lo, 0, v1, vcc_lo
	v_add_co_u32 v2, vcc_lo, v23, v2
	v_add_co_ci_u32_e32 v3, vcc_lo, v28, v3, vcc_lo
	s_waitcnt vmcnt(4) lgkmcnt(6)
	v_mul_f32_e32 v20, v24, v35
	v_mul_f32_e32 v29, v22, v37
	v_mul_f32_e32 v32, v12, v35
	v_mul_f32_e32 v35, v19, v37
	v_fma_f32 v12, v12, v34, -v20
	v_fma_f32 v37, v19, v36, -v29
	v_fmac_f32_e32 v32, v34, v24
	v_fmac_f32_e32 v35, v36, v22
	v_sub_f32_e32 v22, v12, v37
	v_add_f32_e32 v20, v32, v35
	v_sub_f32_e32 v28, v32, v35
	s_waitcnt vmcnt(3)
	v_mul_f32_e32 v19, v21, v39
	v_mul_f32_e32 v24, v18, v39
	s_waitcnt lgkmcnt(5)
	v_mul_f32_e32 v23, v31, v41
	v_fma_f32 v36, v18, v38, -v19
	v_add_f32_e32 v18, v12, v37
	v_fmac_f32_e32 v24, v38, v21
	v_mul_f32_e32 v38, v17, v41
	s_waitcnt lgkmcnt(0)
	v_fma_f32 v19, -0.5, v20, v58
	v_add_co_u32 v20, vcc_lo, 0x4000, v0
	v_fma_f32 v18, -0.5, v18, v6
	v_fma_f32 v39, v17, v40, -v23
	v_fmac_f32_e32 v38, v40, v31
	v_add_co_ci_u32_e32 v21, vcc_lo, 0, v1, vcc_lo
	v_fmamk_f32 v23, v22, 0x3f5db3d7, v19
	v_fmac_f32_e32 v19, 0xbf5db3d7, v22
	v_fmamk_f32 v22, v28, 0xbf5db3d7, v18
	v_add_f32_e32 v6, v6, v12
	s_waitcnt vmcnt(2)
	v_mul_f32_e32 v12, v27, v43
	v_mul_f32_e32 v40, v16, v45
	;; [unrolled: 1-line block ×3, first 2 shown]
	global_store_dwordx2 v[20:21], v[22:23], off offset:1616
	v_add_f32_e32 v31, v6, v37
	v_mul_f32_e32 v6, v30, v45
	v_fma_f32 v12, v15, v42, -v12
	v_add_f32_e32 v15, v24, v38
	v_add_f32_e32 v23, v36, v39
	v_fmac_f32_e32 v40, v44, v30
	v_fma_f32 v6, v16, v44, -v6
	v_sub_f32_e32 v30, v36, v39
	v_add_f32_e32 v36, v33, v36
	v_fma_f32 v16, -0.5, v15, v60
	v_fma_f32 v15, -0.5, v23, v33
	v_fmac_f32_e32 v18, 0x3f5db3d7, v28
	v_fmac_f32_e32 v41, v42, v27
	v_add_f32_e32 v27, v24, v60
	v_add_co_u32 v28, vcc_lo, 0x2800, v0
	s_waitcnt vmcnt(1)
	v_mul_f32_e32 v33, v26, v47
	v_mul_f32_e32 v43, v14, v47
	;; [unrolled: 1-line block ×3, first 2 shown]
	v_add_co_ci_u32_e32 v29, vcc_lo, 0, v1, vcc_lo
	v_fma_f32 v33, v14, v46, -v33
	v_mul_f32_e32 v14, v57, v49
	v_fmac_f32_e32 v43, v46, v26
	global_store_dwordx2 v[4:5], v[18:19], off offset:808
	v_add_f32_e32 v19, v32, v58
	v_add_co_u32 v4, vcc_lo, 0x4800, v0
	v_fma_f32 v46, v11, v48, -v14
	v_add_f32_e32 v11, v9, v12
	v_sub_f32_e32 v42, v24, v38
	v_add_f32_e32 v24, v38, v27
	v_add_f32_e32 v23, v36, v39
	;; [unrolled: 1-line block ×3, first 2 shown]
	v_sub_f32_e32 v45, v12, v6
	v_add_f32_e32 v38, v12, v6
	s_waitcnt vmcnt(0)
	v_mul_f32_e32 v39, v25, v51
	v_add_f32_e32 v11, v11, v6
	v_add_f32_e32 v6, v41, v40
	v_add_co_ci_u32_e32 v5, vcc_lo, 0, v1, vcc_lo
	v_add_co_u32 v17, vcc_lo, 0x800, v0
	v_add_f32_e32 v32, v35, v19
	v_add_co_ci_u32_e32 v18, vcc_lo, 0, v1, vcc_lo
	v_fmac_f32_e32 v44, v48, v57
	v_add_f32_e32 v12, v40, v14
	v_mul_f32_e32 v48, v13, v51
	v_fma_f32 v49, v13, v50, -v39
	v_fmamk_f32 v14, v30, 0x3f5db3d7, v16
	v_fmac_f32_e32 v16, 0xbf5db3d7, v30
	v_mul_f32_e32 v30, v56, v53
	v_fma_f32 v39, -0.5, v6, v55
	v_mul_f32_e32 v6, v10, v53
	v_add_co_u32 v34, vcc_lo, 0x3000, v0
	v_add_co_ci_u32_e32 v35, vcc_lo, 0, v1, vcc_lo
	global_store_dwordx2 v[0:1], v[31:32], off
	v_add_co_u32 v31, vcc_lo, 0x5000, v0
	v_sub_f32_e32 v47, v41, v40
	v_fmamk_f32 v13, v42, 0xbf5db3d7, v15
	v_fmac_f32_e32 v15, 0x3f5db3d7, v42
	v_fma_f32 v38, -0.5, v38, v9
	v_fma_f32 v30, v10, v52, -v30
	v_fmac_f32_e32 v48, v50, v25
	v_add_f32_e32 v42, v43, v44
	v_fmac_f32_e32 v6, v52, v56
	v_add_f32_e32 v51, v33, v46
	v_add_co_ci_u32_e32 v32, vcc_lo, 0, v1, vcc_lo
	v_add_co_u32 v19, vcc_lo, 0x1000, v0
	v_sub_f32_e32 v25, v33, v46
	v_add_f32_e32 v50, v43, v54
	v_add_f32_e32 v33, v8, v33
	v_add_co_ci_u32_e32 v20, vcc_lo, 0, v1, vcc_lo
	v_add_co_u32 v21, vcc_lo, 0x3800, v0
	v_sub_f32_e32 v52, v43, v44
	v_fmamk_f32 v40, v47, 0xbf5db3d7, v38
	v_fmac_f32_e32 v38, 0x3f5db3d7, v47
	v_fma_f32 v43, -0.5, v42, v54
	v_fma_f32 v42, -0.5, v51, v8
	v_add_f32_e32 v8, v48, v6
	v_add_f32_e32 v47, v49, v30
	v_add_co_ci_u32_e32 v22, vcc_lo, 0, v1, vcc_lo
	v_fmamk_f32 v41, v45, 0x3f5db3d7, v39
	v_fmac_f32_e32 v39, 0xbf5db3d7, v45
	v_add_f32_e32 v45, v44, v50
	v_add_f32_e32 v44, v33, v46
	v_sub_f32_e32 v33, v49, v30
	v_add_f32_e32 v46, v48, v59
	v_add_f32_e32 v49, v7, v49
	v_add_co_u32 v36, vcc_lo, 0x5800, v0
	v_add_co_ci_u32_e32 v37, vcc_lo, 0, v1, vcc_lo
	v_sub_f32_e32 v48, v48, v6
	v_fma_f32 v8, -0.5, v8, v59
	v_fma_f32 v7, -0.5, v47, v7
	v_add_co_u32 v26, vcc_lo, 0x2000, v2
	global_store_dwordx2 v[19:20], v[11:12], off offset:1304
	v_add_f32_e32 v20, v6, v46
	v_add_f32_e32 v19, v49, v30
	v_add_co_ci_u32_e32 v27, vcc_lo, 0, v3, vcc_lo
	v_fmamk_f32 v12, v25, 0x3f5db3d7, v43
	v_fmac_f32_e32 v43, 0xbf5db3d7, v25
	v_fmamk_f32 v11, v52, 0xbf5db3d7, v42
	v_fmac_f32_e32 v42, 0x3f5db3d7, v52
	v_add_co_u32 v9, vcc_lo, 0x4000, v2
	global_store_dwordx2 v[17:18], v[44:45], off offset:1552
	global_store_dwordx2 v[21:22], v[38:39], off offset:64
	v_fmamk_f32 v18, v33, 0x3f5db3d7, v8
	v_fmac_f32_e32 v8, 0xbf5db3d7, v33
	v_fmamk_f32 v17, v48, 0xbf5db3d7, v7
	v_fmac_f32_e32 v7, 0x3f5db3d7, v48
	v_add_co_ci_u32_e32 v10, vcc_lo, 0, v3, vcc_lo
	global_store_dwordx2 v[36:37], v[40:41], off offset:872
	global_store_dwordx2 v[0:1], v[19:20], off offset:1800
	;; [unrolled: 1-line block ×6, first 2 shown]
	global_store_dwordx2 v[2:3], v[23:24], off
	global_store_dwordx2 v[26:27], v[15:16], off offset:808
	global_store_dwordx2 v[9:10], v[13:14], off offset:1616
.LBB0_13:
	s_endpgm
	.section	.rodata,"a",@progbits
	.p2align	6, 0x0
	.amdhsa_kernel fft_rtc_fwd_len3375_factors_5_5_5_3_3_3_wgs_225_tpt_225_halfLds_sp_ip_CI_unitstride_sbrr_dirReg
		.amdhsa_group_segment_fixed_size 0
		.amdhsa_private_segment_fixed_size 0
		.amdhsa_kernarg_size 88
		.amdhsa_user_sgpr_count 6
		.amdhsa_user_sgpr_private_segment_buffer 1
		.amdhsa_user_sgpr_dispatch_ptr 0
		.amdhsa_user_sgpr_queue_ptr 0
		.amdhsa_user_sgpr_kernarg_segment_ptr 1
		.amdhsa_user_sgpr_dispatch_id 0
		.amdhsa_user_sgpr_flat_scratch_init 0
		.amdhsa_user_sgpr_private_segment_size 0
		.amdhsa_wavefront_size32 1
		.amdhsa_uses_dynamic_stack 0
		.amdhsa_system_sgpr_private_segment_wavefront_offset 0
		.amdhsa_system_sgpr_workgroup_id_x 1
		.amdhsa_system_sgpr_workgroup_id_y 0
		.amdhsa_system_sgpr_workgroup_id_z 0
		.amdhsa_system_sgpr_workgroup_info 0
		.amdhsa_system_vgpr_workitem_id 0
		.amdhsa_next_free_vgpr 64
		.amdhsa_next_free_sgpr 21
		.amdhsa_reserve_vcc 1
		.amdhsa_reserve_flat_scratch 0
		.amdhsa_float_round_mode_32 0
		.amdhsa_float_round_mode_16_64 0
		.amdhsa_float_denorm_mode_32 3
		.amdhsa_float_denorm_mode_16_64 3
		.amdhsa_dx10_clamp 1
		.amdhsa_ieee_mode 1
		.amdhsa_fp16_overflow 0
		.amdhsa_workgroup_processor_mode 1
		.amdhsa_memory_ordered 1
		.amdhsa_forward_progress 0
		.amdhsa_shared_vgpr_count 0
		.amdhsa_exception_fp_ieee_invalid_op 0
		.amdhsa_exception_fp_denorm_src 0
		.amdhsa_exception_fp_ieee_div_zero 0
		.amdhsa_exception_fp_ieee_overflow 0
		.amdhsa_exception_fp_ieee_underflow 0
		.amdhsa_exception_fp_ieee_inexact 0
		.amdhsa_exception_int_div_zero 0
	.end_amdhsa_kernel
	.text
.Lfunc_end0:
	.size	fft_rtc_fwd_len3375_factors_5_5_5_3_3_3_wgs_225_tpt_225_halfLds_sp_ip_CI_unitstride_sbrr_dirReg, .Lfunc_end0-fft_rtc_fwd_len3375_factors_5_5_5_3_3_3_wgs_225_tpt_225_halfLds_sp_ip_CI_unitstride_sbrr_dirReg
                                        ; -- End function
	.section	.AMDGPU.csdata,"",@progbits
; Kernel info:
; codeLenInByte = 11196
; NumSgprs: 23
; NumVgprs: 64
; ScratchSize: 0
; MemoryBound: 0
; FloatMode: 240
; IeeeMode: 1
; LDSByteSize: 0 bytes/workgroup (compile time only)
; SGPRBlocks: 2
; VGPRBlocks: 7
; NumSGPRsForWavesPerEU: 23
; NumVGPRsForWavesPerEU: 64
; Occupancy: 16
; WaveLimiterHint : 1
; COMPUTE_PGM_RSRC2:SCRATCH_EN: 0
; COMPUTE_PGM_RSRC2:USER_SGPR: 6
; COMPUTE_PGM_RSRC2:TRAP_HANDLER: 0
; COMPUTE_PGM_RSRC2:TGID_X_EN: 1
; COMPUTE_PGM_RSRC2:TGID_Y_EN: 0
; COMPUTE_PGM_RSRC2:TGID_Z_EN: 0
; COMPUTE_PGM_RSRC2:TIDIG_COMP_CNT: 0
	.text
	.p2alignl 6, 3214868480
	.fill 48, 4, 3214868480
	.type	__hip_cuid_ee861461f8ca76bf,@object ; @__hip_cuid_ee861461f8ca76bf
	.section	.bss,"aw",@nobits
	.globl	__hip_cuid_ee861461f8ca76bf
__hip_cuid_ee861461f8ca76bf:
	.byte	0                               ; 0x0
	.size	__hip_cuid_ee861461f8ca76bf, 1

	.ident	"AMD clang version 19.0.0git (https://github.com/RadeonOpenCompute/llvm-project roc-6.4.0 25133 c7fe45cf4b819c5991fe208aaa96edf142730f1d)"
	.section	".note.GNU-stack","",@progbits
	.addrsig
	.addrsig_sym __hip_cuid_ee861461f8ca76bf
	.amdgpu_metadata
---
amdhsa.kernels:
  - .args:
      - .actual_access:  read_only
        .address_space:  global
        .offset:         0
        .size:           8
        .value_kind:     global_buffer
      - .offset:         8
        .size:           8
        .value_kind:     by_value
      - .actual_access:  read_only
        .address_space:  global
        .offset:         16
        .size:           8
        .value_kind:     global_buffer
      - .actual_access:  read_only
        .address_space:  global
        .offset:         24
        .size:           8
        .value_kind:     global_buffer
      - .offset:         32
        .size:           8
        .value_kind:     by_value
      - .actual_access:  read_only
        .address_space:  global
        .offset:         40
        .size:           8
        .value_kind:     global_buffer
      - .actual_access:  read_only
        .address_space:  global
        .offset:         48
        .size:           8
        .value_kind:     global_buffer
      - .offset:         56
        .size:           4
        .value_kind:     by_value
      - .actual_access:  read_only
        .address_space:  global
        .offset:         64
        .size:           8
        .value_kind:     global_buffer
      - .actual_access:  read_only
        .address_space:  global
        .offset:         72
        .size:           8
        .value_kind:     global_buffer
      - .address_space:  global
        .offset:         80
        .size:           8
        .value_kind:     global_buffer
    .group_segment_fixed_size: 0
    .kernarg_segment_align: 8
    .kernarg_segment_size: 88
    .language:       OpenCL C
    .language_version:
      - 2
      - 0
    .max_flat_workgroup_size: 225
    .name:           fft_rtc_fwd_len3375_factors_5_5_5_3_3_3_wgs_225_tpt_225_halfLds_sp_ip_CI_unitstride_sbrr_dirReg
    .private_segment_fixed_size: 0
    .sgpr_count:     23
    .sgpr_spill_count: 0
    .symbol:         fft_rtc_fwd_len3375_factors_5_5_5_3_3_3_wgs_225_tpt_225_halfLds_sp_ip_CI_unitstride_sbrr_dirReg.kd
    .uniform_work_group_size: 1
    .uses_dynamic_stack: false
    .vgpr_count:     64
    .vgpr_spill_count: 0
    .wavefront_size: 32
    .workgroup_processor_mode: 1
amdhsa.target:   amdgcn-amd-amdhsa--gfx1030
amdhsa.version:
  - 1
  - 2
...

	.end_amdgpu_metadata
